;; amdgpu-corpus repo=ROCm/rocFFT kind=compiled arch=gfx906 opt=O3
	.text
	.amdgcn_target "amdgcn-amd-amdhsa--gfx906"
	.amdhsa_code_object_version 6
	.protected	bluestein_single_back_len476_dim1_half_op_CI_CI ; -- Begin function bluestein_single_back_len476_dim1_half_op_CI_CI
	.globl	bluestein_single_back_len476_dim1_half_op_CI_CI
	.p2align	8
	.type	bluestein_single_back_len476_dim1_half_op_CI_CI,@function
bluestein_single_back_len476_dim1_half_op_CI_CI: ; @bluestein_single_back_len476_dim1_half_op_CI_CI
; %bb.0:
	v_mul_u32_u24_e32 v1, 0x788, v0
	s_load_dwordx4 s[0:3], s[4:5], 0x28
	v_lshrrev_b32_e32 v1, 16, v1
	v_mad_u64_u32 v[4:5], s[6:7], s6, 3, v[1:2]
	v_mov_b32_e32 v5, 0
	s_waitcnt lgkmcnt(0)
	v_cmp_gt_u64_e32 vcc, s[0:1], v[4:5]
	s_and_saveexec_b64 s[0:1], vcc
	s_cbranch_execz .LBB0_15
; %bb.1:
	s_mov_b32 s0, 0xaaaaaaab
	v_mul_hi_u32 v2, v4, s0
	v_mul_lo_u16_e32 v1, 34, v1
	s_load_dwordx2 s[6:7], s[4:5], 0x0
	s_load_dwordx2 s[12:13], s[4:5], 0x38
	v_sub_u16_e32 v23, v0, v1
	v_lshrrev_b32_e32 v0, 1, v2
	v_lshl_add_u32 v0, v0, 1, v0
	v_sub_u32_e32 v0, v4, v0
	v_mul_u32_u24_e32 v25, 0x1dc, v0
	v_cmp_gt_u16_e32 vcc, 28, v23
	v_lshlrev_b32_e32 v24, 2, v23
	v_lshlrev_b32_e32 v26, 2, v25
	s_and_saveexec_b64 s[14:15], vcc
	s_cbranch_execz .LBB0_3
; %bb.2:
	s_load_dwordx2 s[0:1], s[4:5], 0x18
	v_lshl_add_u32 v17, v23, 2, v26
	v_add_u32_e32 v18, v26, v24
	s_waitcnt lgkmcnt(0)
	s_load_dwordx4 s[8:11], s[0:1], 0x0
	s_waitcnt lgkmcnt(0)
	v_mad_u64_u32 v[0:1], s[0:1], s10, v4, 0
	v_mad_u64_u32 v[2:3], s[0:1], s8, v23, 0
	;; [unrolled: 1-line block ×4, first 2 shown]
	v_mov_b32_e32 v1, v5
	v_lshlrev_b64 v[0:1], 2, v[0:1]
	v_mov_b32_e32 v3, v6
	v_mov_b32_e32 v7, s3
	v_lshlrev_b64 v[2:3], 2, v[2:3]
	v_add_co_u32_e64 v8, s[0:1], s2, v0
	v_addc_co_u32_e64 v7, s[0:1], v7, v1, s[0:1]
	v_add_co_u32_e64 v0, s[0:1], v8, v2
	v_addc_co_u32_e64 v1, s[0:1], v7, v3, s[0:1]
	s_mul_i32 s0, s9, 0x70
	s_mul_hi_u32 s3, s8, 0x70
	s_add_i32 s3, s3, s0
	s_mul_i32 s2, s8, 0x70
	v_mov_b32_e32 v3, s3
	v_add_co_u32_e64 v2, s[0:1], s2, v0
	v_addc_co_u32_e64 v3, s[0:1], v1, v3, s[0:1]
	global_load_dword v9, v[0:1], off
	global_load_dword v10, v[2:3], off
	global_load_dword v11, v24, s[6:7]
	global_load_dword v12, v24, s[6:7] offset:112
	v_mov_b32_e32 v1, s3
	v_add_co_u32_e64 v0, s[0:1], s2, v2
	v_addc_co_u32_e64 v1, s[0:1], v3, v1, s[0:1]
	global_load_dword v13, v[0:1], off
	global_load_dword v14, v24, s[6:7] offset:224
	v_mov_b32_e32 v2, s3
	v_add_co_u32_e64 v0, s[0:1], s2, v0
	v_addc_co_u32_e64 v1, s[0:1], v1, v2, s[0:1]
	global_load_dword v15, v[0:1], off
	global_load_dword v16, v24, s[6:7] offset:336
	v_or_b32_e32 v5, 0xe0, v23
	v_mad_u64_u32 v[2:3], s[0:1], s8, v5, 0
	v_mov_b32_e32 v27, s3
	global_load_dword v19, v24, s[6:7] offset:448
	global_load_dword v20, v24, s[6:7] offset:560
	;; [unrolled: 1-line block ×4, first 2 shown]
	v_mad_u64_u32 v[5:6], s[0:1], s9, v5, v[3:4]
	v_add_co_u32_e64 v0, s[0:1], s2, v0
	v_addc_co_u32_e64 v1, s[0:1], v1, v27, s[0:1]
	global_load_dword v27, v[0:1], off
	v_mov_b32_e32 v28, s3
	v_add_co_u32_e64 v0, s[0:1], s2, v0
	v_addc_co_u32_e64 v1, s[0:1], v1, v28, s[0:1]
	global_load_dword v28, v[0:1], off
	v_mov_b32_e32 v29, s3
	;; [unrolled: 4-line block ×3, first 2 shown]
	v_add_co_u32_e64 v0, s[0:1], s2, v0
	v_addc_co_u32_e64 v1, s[0:1], v1, v30, s[0:1]
	v_mov_b32_e32 v34, s3
	s_waitcnt vmcnt(14)
	v_lshrrev_b32_e32 v3, 16, v9
	s_waitcnt vmcnt(12)
	v_mul_f16_sdwa v6, v11, v9 dst_sel:DWORD dst_unused:UNUSED_PAD src0_sel:WORD_1 src1_sel:DWORD
	v_mul_f16_sdwa v31, v11, v3 dst_sel:DWORD dst_unused:UNUSED_PAD src0_sel:WORD_1 src1_sel:DWORD
	v_fma_f16 v3, v11, v3, -v6
	v_lshrrev_b32_e32 v6, 16, v10
	s_waitcnt vmcnt(11)
	v_mul_f16_sdwa v32, v12, v10 dst_sel:DWORD dst_unused:UNUSED_PAD src0_sel:WORD_1 src1_sel:DWORD
	v_fma_f16 v9, v11, v9, v31
	v_mul_f16_sdwa v11, v12, v6 dst_sel:DWORD dst_unused:UNUSED_PAD src0_sel:WORD_1 src1_sel:DWORD
	s_waitcnt vmcnt(10)
	v_lshrrev_b32_e32 v31, 16, v13
	v_fma_f16 v6, v12, v6, -v32
	s_waitcnt vmcnt(9)
	v_mul_f16_sdwa v32, v14, v13 dst_sel:DWORD dst_unused:UNUSED_PAD src0_sel:WORD_1 src1_sel:DWORD
	v_pack_b32_f16 v3, v9, v3
	v_fma_f16 v9, v12, v10, v11
	v_mul_f16_sdwa v10, v14, v31 dst_sel:DWORD dst_unused:UNUSED_PAD src0_sel:WORD_1 src1_sel:DWORD
	v_fma_f16 v11, v14, v31, -v32
	ds_write_b32 v17, v3
	v_pack_b32_f16 v3, v9, v6
	v_fma_f16 v6, v14, v13, v10
	s_waitcnt vmcnt(8)
	v_lshrrev_b32_e32 v12, 16, v15
	v_pack_b32_f16 v6, v6, v11
	s_waitcnt vmcnt(7)
	v_mul_f16_sdwa v31, v16, v15 dst_sel:DWORD dst_unused:UNUSED_PAD src0_sel:WORD_1 src1_sel:DWORD
	v_mul_f16_sdwa v9, v16, v12 dst_sel:DWORD dst_unused:UNUSED_PAD src0_sel:WORD_1 src1_sel:DWORD
	ds_write2_b32 v18, v3, v6 offset0:28 offset1:56
	v_mov_b32_e32 v3, v5
	v_fma_f16 v10, v16, v12, -v31
	v_fma_f16 v9, v16, v15, v9
	v_lshlrev_b64 v[2:3], 2, v[2:3]
	v_mov_b32_e32 v5, 0xe0
	v_pack_b32_f16 v9, v9, v10
	global_load_dword v10, v[0:1], off
	v_mad_u64_u32 v[0:1], s[0:1], s8, v5, v[0:1]
	v_add_co_u32_e64 v2, s[0:1], v8, v2
	v_addc_co_u32_e64 v3, s[0:1], v7, v3, s[0:1]
	s_mul_i32 s0, s9, 0xe0
	global_load_dword v11, v[2:3], off
	v_add_u32_e32 v1, s0, v1
	global_load_dword v12, v[0:1], off
	global_load_dword v13, v24, s[6:7] offset:896
	v_mov_b32_e32 v2, s3
	v_add_co_u32_e64 v0, s[0:1], s2, v0
	v_addc_co_u32_e64 v1, s[0:1], v1, v2, s[0:1]
	global_load_dword v14, v[0:1], off
	v_add_co_u32_e64 v0, s[0:1], s2, v0
	v_addc_co_u32_e64 v1, s[0:1], v1, v2, s[0:1]
	global_load_dword v15, v24, s[6:7] offset:1008
	global_load_dword v16, v[0:1], off
	global_load_dword v17, v24, s[6:7] offset:1120
	v_add_co_u32_e64 v0, s[0:1], s2, v0
	v_addc_co_u32_e64 v1, s[0:1], v1, v2, s[0:1]
	global_load_dword v30, v[0:1], off
	global_load_dword v31, v24, s[6:7] offset:1232
	global_load_dword v32, v24, s[6:7] offset:1344
	v_add_co_u32_e64 v0, s[0:1], s2, v0
	v_or_b32_e32 v6, 0x1c0, v23
	v_addc_co_u32_e64 v1, s[0:1], v1, v2, s[0:1]
	v_mad_u64_u32 v[2:3], s[0:1], s8, v6, 0
	global_load_dword v33, v[0:1], off
	v_mov_b32_e32 v5, s3
	v_add_co_u32_e64 v0, s[0:1], s2, v0
	v_addc_co_u32_e64 v1, s[0:1], v1, v5, s[0:1]
	global_load_dword v35, v[0:1], off
	global_load_dword v36, v24, s[6:7] offset:1456
	v_mad_u64_u32 v[5:6], s[0:1], s9, v6, v[3:4]
	global_load_dword v6, v24, s[6:7] offset:1568
	v_add_co_u32_e64 v0, s[0:1], s2, v0
	v_addc_co_u32_e64 v1, s[0:1], v1, v34, s[0:1]
	v_mov_b32_e32 v3, v5
	global_load_dword v5, v24, s[6:7] offset:1680
	global_load_dword v34, v[0:1], off
	v_lshlrev_b64 v[0:1], 2, v[2:3]
	s_waitcnt vmcnt(19)
	v_lshrrev_b32_e32 v2, 16, v27
	v_add_co_u32_e64 v0, s[0:1], v8, v0
	v_addc_co_u32_e64 v1, s[0:1], v7, v1, s[0:1]
	global_load_dword v7, v[0:1], off
	global_load_dword v8, v24, s[6:7] offset:1792
	v_mul_f16_sdwa v3, v19, v2 dst_sel:DWORD dst_unused:UNUSED_PAD src0_sel:WORD_1 src1_sel:DWORD
	v_mul_f16_sdwa v1, v19, v27 dst_sel:DWORD dst_unused:UNUSED_PAD src0_sel:WORD_1 src1_sel:DWORD
	v_fma_f16 v0, v19, v27, v3
	v_fma_f16 v1, v19, v2, -v1
	v_pack_b32_f16 v0, v0, v1
	ds_write2_b32 v18, v9, v0 offset0:84 offset1:112
	s_waitcnt vmcnt(20)
	v_lshrrev_b32_e32 v0, 16, v28
	v_mul_f16_sdwa v1, v20, v0 dst_sel:DWORD dst_unused:UNUSED_PAD src0_sel:WORD_1 src1_sel:DWORD
	v_mul_f16_sdwa v2, v20, v28 dst_sel:DWORD dst_unused:UNUSED_PAD src0_sel:WORD_1 src1_sel:DWORD
	v_fma_f16 v1, v20, v28, v1
	v_fma_f16 v0, v20, v0, -v2
	v_pack_b32_f16 v0, v1, v0
	s_waitcnt vmcnt(19)
	v_lshrrev_b32_e32 v1, 16, v29
	v_mul_f16_sdwa v2, v21, v1 dst_sel:DWORD dst_unused:UNUSED_PAD src0_sel:WORD_1 src1_sel:DWORD
	v_mul_f16_sdwa v3, v21, v29 dst_sel:DWORD dst_unused:UNUSED_PAD src0_sel:WORD_1 src1_sel:DWORD
	v_fma_f16 v2, v21, v29, v2
	v_fma_f16 v1, v21, v1, -v3
	v_pack_b32_f16 v1, v2, v1
	ds_write2_b32 v18, v0, v1 offset0:140 offset1:168
	s_waitcnt vmcnt(18)
	v_lshrrev_b32_e32 v0, 16, v10
	v_mul_f16_sdwa v1, v22, v0 dst_sel:DWORD dst_unused:UNUSED_PAD src0_sel:WORD_1 src1_sel:DWORD
	v_mul_f16_sdwa v2, v22, v10 dst_sel:DWORD dst_unused:UNUSED_PAD src0_sel:WORD_1 src1_sel:DWORD
	v_fma_f16 v1, v22, v10, v1
	v_fma_f16 v0, v22, v0, -v2
	v_pack_b32_f16 v0, v1, v0
	s_waitcnt vmcnt(17)
	v_lshrrev_b32_e32 v1, 16, v11
	s_waitcnt vmcnt(15)
	v_mul_f16_sdwa v2, v13, v1 dst_sel:DWORD dst_unused:UNUSED_PAD src0_sel:WORD_1 src1_sel:DWORD
	v_mul_f16_sdwa v3, v13, v11 dst_sel:DWORD dst_unused:UNUSED_PAD src0_sel:WORD_1 src1_sel:DWORD
	v_fma_f16 v2, v13, v11, v2
	v_fma_f16 v1, v13, v1, -v3
	v_pack_b32_f16 v1, v2, v1
	ds_write2_b32 v18, v0, v1 offset0:196 offset1:224
	v_lshrrev_b32_e32 v0, 16, v12
	s_waitcnt vmcnt(13)
	v_mul_f16_sdwa v1, v15, v0 dst_sel:DWORD dst_unused:UNUSED_PAD src0_sel:WORD_1 src1_sel:DWORD
	v_mul_f16_sdwa v2, v15, v12 dst_sel:DWORD dst_unused:UNUSED_PAD src0_sel:WORD_1 src1_sel:DWORD
	v_fma_f16 v1, v15, v12, v1
	v_fma_f16 v0, v15, v0, -v2
	v_pack_b32_f16 v0, v1, v0
	v_lshrrev_b32_e32 v1, 16, v14
	s_waitcnt vmcnt(11)
	v_mul_f16_sdwa v2, v17, v1 dst_sel:DWORD dst_unused:UNUSED_PAD src0_sel:WORD_1 src1_sel:DWORD
	v_mul_f16_sdwa v3, v17, v14 dst_sel:DWORD dst_unused:UNUSED_PAD src0_sel:WORD_1 src1_sel:DWORD
	v_fma_f16 v2, v17, v14, v2
	v_fma_f16 v1, v17, v1, -v3
	v_pack_b32_f16 v1, v2, v1
	v_add_u32_e32 v2, 0x200, v18
	ds_write2_b32 v2, v0, v1 offset0:124 offset1:152
	v_lshrrev_b32_e32 v0, 16, v16
	s_waitcnt vmcnt(9)
	v_mul_f16_sdwa v1, v31, v0 dst_sel:DWORD dst_unused:UNUSED_PAD src0_sel:WORD_1 src1_sel:DWORD
	v_mul_f16_sdwa v2, v31, v16 dst_sel:DWORD dst_unused:UNUSED_PAD src0_sel:WORD_1 src1_sel:DWORD
	v_fma_f16 v1, v31, v16, v1
	v_fma_f16 v0, v31, v0, -v2
	v_pack_b32_f16 v0, v1, v0
	v_lshrrev_b32_e32 v1, 16, v30
	s_waitcnt vmcnt(8)
	v_mul_f16_sdwa v2, v32, v1 dst_sel:DWORD dst_unused:UNUSED_PAD src0_sel:WORD_1 src1_sel:DWORD
	v_mul_f16_sdwa v3, v32, v30 dst_sel:DWORD dst_unused:UNUSED_PAD src0_sel:WORD_1 src1_sel:DWORD
	v_fma_f16 v2, v32, v30, v2
	v_fma_f16 v1, v32, v1, -v3
	v_pack_b32_f16 v1, v2, v1
	v_add_u32_e32 v2, 0x400, v18
	ds_write2_b32 v2, v0, v1 offset0:52 offset1:80
	s_waitcnt vmcnt(7)
	v_lshrrev_b32_e32 v0, 16, v33
	s_waitcnt vmcnt(5)
	v_mul_f16_sdwa v1, v36, v0 dst_sel:DWORD dst_unused:UNUSED_PAD src0_sel:WORD_1 src1_sel:DWORD
	v_mul_f16_sdwa v3, v36, v33 dst_sel:DWORD dst_unused:UNUSED_PAD src0_sel:WORD_1 src1_sel:DWORD
	v_fma_f16 v1, v36, v33, v1
	v_fma_f16 v0, v36, v0, -v3
	v_pack_b32_f16 v0, v1, v0
	v_lshrrev_b32_e32 v1, 16, v35
	s_waitcnt vmcnt(4)
	v_mul_f16_sdwa v3, v6, v1 dst_sel:DWORD dst_unused:UNUSED_PAD src0_sel:WORD_1 src1_sel:DWORD
	v_mul_f16_sdwa v9, v6, v35 dst_sel:DWORD dst_unused:UNUSED_PAD src0_sel:WORD_1 src1_sel:DWORD
	v_fma_f16 v3, v6, v35, v3
	v_fma_f16 v1, v6, v1, -v9
	v_pack_b32_f16 v1, v3, v1
	ds_write2_b32 v2, v0, v1 offset0:108 offset1:136
	s_waitcnt vmcnt(2)
	v_lshrrev_b32_e32 v0, 16, v34
	v_mul_f16_sdwa v1, v5, v0 dst_sel:DWORD dst_unused:UNUSED_PAD src0_sel:WORD_1 src1_sel:DWORD
	v_mul_f16_sdwa v3, v5, v34 dst_sel:DWORD dst_unused:UNUSED_PAD src0_sel:WORD_1 src1_sel:DWORD
	v_fma_f16 v1, v5, v34, v1
	v_fma_f16 v0, v5, v0, -v3
	v_pack_b32_f16 v0, v1, v0
	s_waitcnt vmcnt(1)
	v_lshrrev_b32_e32 v1, 16, v7
	s_waitcnt vmcnt(0)
	v_mul_f16_sdwa v3, v8, v1 dst_sel:DWORD dst_unused:UNUSED_PAD src0_sel:WORD_1 src1_sel:DWORD
	v_mul_f16_sdwa v5, v8, v7 dst_sel:DWORD dst_unused:UNUSED_PAD src0_sel:WORD_1 src1_sel:DWORD
	v_fma_f16 v3, v8, v7, v3
	v_fma_f16 v1, v8, v1, -v5
	v_pack_b32_f16 v1, v3, v1
	ds_write2_b32 v2, v0, v1 offset0:164 offset1:192
.LBB0_3:
	s_or_b64 exec, exec, s[14:15]
	s_load_dwordx2 s[0:1], s[4:5], 0x20
	s_load_dwordx2 s[2:3], s[4:5], 0x8
	v_mov_b32_e32 v0, 0
	s_waitcnt lgkmcnt(0)
	s_barrier
	s_waitcnt lgkmcnt(0)
                                        ; implicit-def: $vgpr19
                                        ; implicit-def: $vgpr3
                                        ; implicit-def: $vgpr8
                                        ; implicit-def: $vgpr12
                                        ; implicit-def: $vgpr10
                                        ; implicit-def: $vgpr14
                                        ; implicit-def: $vgpr16
                                        ; implicit-def: $vgpr18
                                        ; implicit-def: $vgpr43
	s_and_saveexec_b64 s[4:5], vcc
	s_cbranch_execz .LBB0_5
; %bb.4:
	v_lshl_add_u32 v5, v25, 2, v24
	v_add_u32_e32 v2, 0x400, v5
	ds_read2_b32 v[0:1], v5 offset1:28
	ds_read2_b32 v[17:18], v5 offset0:56 offset1:84
	ds_read2_b32 v[15:16], v5 offset0:112 offset1:140
	;; [unrolled: 1-line block ×7, first 2 shown]
	ds_read_b32 v19, v5 offset:1792
	s_waitcnt lgkmcnt(7)
	v_alignbit_b32 v43, v17, v17, 16
.LBB0_5:
	s_or_b64 exec, exec, s[4:5]
	s_waitcnt lgkmcnt(0)
	v_pk_add_f16 v17, v1, v19 neg_lo:[0,1] neg_hi:[0,1]
	s_mov_b32 s23, 0xbb29
	v_pk_add_f16 v20, v19, v1
	s_movk_i32 s10, 0x3722
	v_mul_f16_sdwa v47, v17, s23 dst_sel:DWORD dst_unused:UNUSED_PAD src0_sel:WORD_1 src1_sel:DWORD
	s_mov_b32 s25, 0xb5c8
	v_fma_f16 v21, v20, s10, v47
	s_movk_i32 s8, 0x3b76
	v_mul_f16_sdwa v35, v17, s25 dst_sel:DWORD dst_unused:UNUSED_PAD src0_sel:WORD_1 src1_sel:DWORD
	s_mov_b32 s27, 0xb964
	v_add_f16_e32 v27, v21, v0
	v_pk_add_f16 v21, v3, v43 op_sel:[1,0] op_sel_hi:[0,1]
	v_pk_add_f16 v22, v43, v3 op_sel:[1,0] op_sel_hi:[0,1] neg_lo:[0,1] neg_hi:[0,1]
	v_fma_f16 v5, v20, s8, v35
	v_lshrrev_b32_e32 v58, 16, v20
	s_movk_i32 s9, 0x39e9
	v_mul_f16_e32 v39, 0xb964, v17
	v_lshrrev_b32_e32 v57, 16, v21
	v_mul_f16_sdwa v38, v22, s27 dst_sel:DWORD dst_unused:UNUSED_PAD src0_sel:WORD_1 src1_sel:DWORD
	v_add_f16_e32 v5, v5, v0
	v_fma_f16 v6, v58, s9, -v39
	v_fma_f16 v28, v57, s9, v38
	s_movk_i32 s14, 0x2de8
	v_mul_f16_e32 v44, 0xbbf7, v22
	s_mov_b32 s11, 0xba62
	v_add_f16_sdwa v6, v6, v0 dst_sel:DWORD dst_unused:UNUSED_PAD src0_sel:DWORD src1_sel:WORD_1
	v_add_f16_e32 v5, v28, v5
	v_fma_f16 v28, v21, s14, -v44
	s_mov_b32 s15, 0xb8d2
	v_mul_f16_sdwa v52, v22, s11 dst_sel:DWORD dst_unused:UNUSED_PAD src0_sel:WORD_1 src1_sel:DWORD
	v_mul_f16_e32 v60, 0xbb29, v17
	v_add_f16_e32 v6, v28, v6
	v_fma_f16 v28, v57, s15, v52
	v_add_f16_e32 v27, v28, v27
	v_fma_f16 v28, v58, s10, -v60
	v_mul_f16_e32 v66, 0xba62, v22
	v_pk_add_f16 v32, v18, v2 neg_lo:[0,1] neg_hi:[0,1]
	v_add_f16_sdwa v28, v28, v0 dst_sel:DWORD dst_unused:UNUSED_PAD src0_sel:DWORD src1_sel:WORD_1
	v_fma_f16 v29, v21, s15, -v66
	v_pk_add_f16 v33, v2, v18
	v_mul_f16_sdwa v42, v32, s23 dst_sel:DWORD dst_unused:UNUSED_PAD src0_sel:WORD_1 src1_sel:DWORD
	v_add_f16_e32 v28, v29, v28
	v_fma_f16 v29, v33, s10, v42
	v_lshrrev_b32_e32 v63, 16, v33
	v_mul_f16_e32 v50, 0xba62, v32
	s_movk_i32 s31, 0x31e1
	v_add_f16_e32 v5, v29, v5
	v_fma_f16 v29, v63, s15, -v50
	s_mov_b32 s16, 0xbbdd
	v_mul_f16_sdwa v56, v32, s31 dst_sel:DWORD dst_unused:UNUSED_PAD src0_sel:WORD_1 src1_sel:DWORD
	v_add_f16_e32 v6, v29, v6
	v_fma_f16 v29, v33, s16, v56
	v_mul_f16_e32 v70, 0x31e1, v32
	s_mov_b32 s29, 0xbbf7
	v_pk_add_f16 v34, v15, v8 neg_lo:[0,1] neg_hi:[0,1]
	v_add_f16_e32 v27, v29, v27
	v_fma_f16 v29, v63, s16, -v70
	v_pk_add_f16 v36, v8, v15
	v_mul_f16_sdwa v48, v34, s29 dst_sel:DWORD dst_unused:UNUSED_PAD src0_sel:WORD_1 src1_sel:DWORD
	v_add_f16_e32 v28, v29, v28
	v_fma_f16 v29, v36, s14, v48
	v_lshrrev_b32_e32 v65, 16, v36
	v_mul_f16_e32 v55, 0xb1e1, v34
	s_movk_i32 s30, 0x3bb2
	v_add_f16_e32 v5, v29, v5
	v_fma_f16 v29, v65, s16, -v55
	s_mov_b32 s18, 0xb461
	v_mul_f16_sdwa v61, v34, s30 dst_sel:DWORD dst_unused:UNUSED_PAD src0_sel:WORD_1 src1_sel:DWORD
	v_add_f16_e32 v6, v29, v6
	v_fma_f16 v29, v36, s18, v61
	v_mul_f16_e32 v74, 0x3bb2, v34
	s_mov_b32 s17, 0xbbb2
	v_pk_add_f16 v37, v16, v7 neg_lo:[0,1] neg_hi:[0,1]
	v_add_f16_e32 v27, v29, v27
	v_fma_f16 v29, v65, s18, -v74
	v_pk_add_f16 v40, v7, v16
	v_mul_f16_sdwa v53, v37, s17 dst_sel:DWORD dst_unused:UNUSED_PAD src0_sel:WORD_1 src1_sel:DWORD
	v_add_f16_e32 v28, v29, v28
	v_fma_f16 v29, v40, s18, v53
	s_mov_b32 s20, 0xbacd
	v_lshrrev_b32_e32 v71, 16, v40
	v_mul_f16_e32 v62, 0x3836, v37
	s_movk_i32 s19, 0x3964
	v_add_f16_e32 v5, v29, v5
	v_fma_f16 v29, v71, s20, -v62
	v_mul_f16_sdwa v68, v37, s19 dst_sel:DWORD dst_unused:UNUSED_PAD src0_sel:WORD_1 src1_sel:DWORD
	v_add_f16_e32 v6, v29, v6
	v_fma_f16 v29, v40, s9, v68
	v_mul_f16_e32 v78, 0x3964, v37
	v_pk_add_f16 v41, v13, v12 neg_lo:[0,1] neg_hi:[0,1]
	v_add_f16_e32 v27, v29, v27
	v_fma_f16 v29, v71, s9, -v78
	v_pk_add_f16 v45, v12, v13
	v_mul_f16_sdwa v59, v41, s11 dst_sel:DWORD dst_unused:UNUSED_PAD src0_sel:WORD_1 src1_sel:DWORD
	v_add_f16_e32 v28, v29, v28
	v_fma_f16 v29, v45, s15, v59
	v_lshrrev_b32_e32 v75, 16, v45
	v_mul_f16_e32 v67, 0x3bb2, v41
	v_add_f16_e32 v5, v29, v5
	v_fma_f16 v29, v75, s18, -v67
	v_mul_f16_sdwa v72, v41, s25 dst_sel:DWORD dst_unused:UNUSED_PAD src0_sel:WORD_1 src1_sel:DWORD
	v_add_f16_e32 v6, v29, v6
	v_fma_f16 v29, v45, s8, v72
	v_mul_f16_e32 v81, 0xb5c8, v41
	s_mov_b32 s21, 0xb836
	v_pk_add_f16 v46, v14, v11 neg_lo:[0,1] neg_hi:[0,1]
	v_add_f16_e32 v27, v29, v27
	v_fma_f16 v29, v75, s8, -v81
	v_pk_add_f16 v49, v11, v14
	v_mul_f16_sdwa v64, v46, s21 dst_sel:DWORD dst_unused:UNUSED_PAD src0_sel:WORD_1 src1_sel:DWORD
	v_add_f16_e32 v28, v29, v28
	v_fma_f16 v29, v49, s20, v64
	v_lshrrev_b32_e32 v77, 16, v49
	v_mul_f16_e32 v73, 0x3b29, v46
	v_add_f16_e32 v5, v29, v5
	v_fma_f16 v29, v77, s10, -v73
	v_mul_f16_sdwa v76, v46, s29 dst_sel:DWORD dst_unused:UNUSED_PAD src0_sel:WORD_1 src1_sel:DWORD
	v_add_f16_e32 v29, v29, v6
	v_fma_f16 v6, v49, s14, v76
	v_mul_f16_e32 v87, 0xbbf7, v46
	s_mov_b32 s22, 0xb1e1
	v_pk_add_f16 v51, v9, v10 neg_lo:[0,1] neg_hi:[0,1]
	s_mov_b32 s4, 0x3b7639e9
	v_add_f16_e32 v6, v6, v27
	v_fma_f16 v27, v77, s14, -v87
	v_pk_add_f16 v54, v10, v9
	v_mul_f16_sdwa v69, v51, s22 dst_sel:DWORD dst_unused:UNUSED_PAD src0_sel:WORD_1 src1_sel:DWORD
	s_mov_b32 s5, 0xb964b5c8
	s_mov_b32 s26, 0xbbf7b964
	v_pk_mul_f16 v31, v20, s4
	v_add_f16_e32 v27, v27, v28
	v_fma_f16 v28, v54, s16, v69
	s_mov_b32 s24, 0x2de839e9
	s_mov_b32 s28, 0x3722b8d2
	v_pk_fma_f16 v79, v17, s5, v31 op_sel:[0,0,1] op_sel_hi:[1,1,0]
	v_pk_mul_f16 v88, v22, s26
	v_add_f16_e32 v28, v28, v5
	s_mov_b32 s33, 0xba62bb29
	s_mov_b32 s34, 0x2de8bbdd
	v_pk_fma_f16 v80, v21, s24, v88
	v_add_f16_sdwa v5, v79, v0 dst_sel:DWORD dst_unused:UNUSED_PAD src0_sel:WORD_1 src1_sel:DWORD
	v_pk_mul_f16 v93, v33, s28
	s_mov_b32 s35, 0xb1e1bbf7
	s_mov_b32 s36, 0xb461bacd
	v_add_f16_sdwa v5, v80, v5 dst_sel:DWORD dst_unused:UNUSED_PAD src0_sel:WORD_1 src1_sel:DWORD
	v_pk_fma_f16 v82, v32, s33, v93 op_sel:[0,0,1] op_sel_hi:[1,1,0]
	v_pk_mul_f16 v94, v36, s34
	s_mov_b32 s37, 0x3836bbb2
	s_mov_b32 s38, 0xb8d2b461
	v_add_f16_sdwa v5, v82, v5 dst_sel:DWORD dst_unused:UNUSED_PAD src0_sel:WORD_1 src1_sel:DWORD
	v_pk_fma_f16 v83, v34, s35, v94 op_sel:[0,0,1] op_sel_hi:[1,1,0]
	;; [unrolled: 5-line block ×4, first 2 shown]
	v_pk_mul_f16 v97, v49, s40
	s_mov_b32 s43, 0x35c8b1e1
	v_add_f16_sdwa v5, v85, v5 dst_sel:DWORD dst_unused:UNUSED_PAD src0_sel:WORD_1 src1_sel:DWORD
	v_pk_fma_f16 v86, v46, s41, v97 op_sel:[0,0,1] op_sel_hi:[1,1,0]
	v_mul_f16_sdwa v99, v51, s21 dst_sel:DWORD dst_unused:UNUSED_PAD src0_sel:WORD_1 src1_sel:DWORD
	v_pk_mul_f16 v98, v54, s42
	v_add_f16_sdwa v30, v86, v5 dst_sel:DWORD dst_unused:UNUSED_PAD src0_sel:WORD_1 src1_sel:DWORD
	v_fma_f16 v5, v54, s20, v99
	v_pk_fma_f16 v89, v51, s43, v98 op_sel:[0,0,1] op_sel_hi:[1,1,0]
	v_lshrrev_b32_e32 v100, 16, v54
	v_mul_f16_e32 v90, 0x35c8, v51
	v_add_f16_e32 v5, v5, v6
	v_add_f16_sdwa v6, v89, v30 dst_sel:DWORD dst_unused:UNUSED_PAD src0_sel:WORD_1 src1_sel:DWORD
	v_fma_f16 v30, v100, s8, -v90
	v_mul_f16_e32 v101, 0xb836, v51
	v_add_f16_e32 v29, v30, v29
	v_fma_f16 v30, v100, s20, -v101
	v_pk_fma_f16 v91, v17, s5, v31 op_sel:[0,0,1] op_sel_hi:[1,1,0] neg_lo:[1,0,0] neg_hi:[1,0,0]
	v_add_f16_e32 v30, v30, v27
	v_pk_fma_f16 v92, v21, s24, v88 neg_lo:[0,0,1] neg_hi:[0,0,1]
	v_add_f16_sdwa v27, v91, v0 dst_sel:DWORD dst_unused:UNUSED_PAD src0_sel:DWORD src1_sel:WORD_1
	v_pk_fma_f16 v93, v32, s33, v93 op_sel:[0,0,1] op_sel_hi:[1,1,0] neg_lo:[1,0,0] neg_hi:[1,0,0]
	v_add_f16_e32 v27, v92, v27
	v_pk_fma_f16 v94, v34, s35, v94 op_sel:[0,0,1] op_sel_hi:[1,1,0] neg_lo:[1,0,0] neg_hi:[1,0,0]
	v_add_f16_e32 v27, v93, v27
	;; [unrolled: 2-line block ×6, first 2 shown]
	s_movk_i32 s33, 0x3836
	s_movk_i32 s24, 0x3b29
	v_add_f16_e32 v31, v98, v27
	s_movk_i32 s26, 0x35c8
	v_mul_lo_u16_e32 v27, 17, v23
	s_barrier
	s_and_saveexec_b64 s[4:5], vcc
	s_cbranch_execz .LBB0_7
; %bb.6:
	v_mul_f16_e32 v102, 0x2de8, v58
	s_movk_i32 s28, 0x3bf7
	v_fma_f16 v88, v17, s28, v102
	v_mul_f16_e32 v103, 0xbbdd, v21
	v_add_f16_sdwa v88, v88, v0 dst_sel:DWORD dst_unused:UNUSED_PAD src0_sel:DWORD src1_sel:WORD_1
	v_fma_f16 v104, v22, s31, v103
	v_add_f16_e32 v88, v104, v88
	v_mul_f16_e32 v104, 0xb461, v63
	v_fma_f16 v105, v32, s17, v104
	v_add_f16_e32 v88, v105, v88
	v_mul_f16_e32 v105, 0x3b76, v65
	;; [unrolled: 3-line block ×6, first 2 shown]
	v_fma_f16 v110, v51, s27, v109
	v_add_f16_e32 v88, v110, v88
	v_mul_f16_sdwa v110, v17, s29 dst_sel:DWORD dst_unused:UNUSED_PAD src0_sel:WORD_1 src1_sel:DWORD
	v_fma_f16 v111, v20, s14, v110
	v_mul_f16_sdwa v112, v22, s22 dst_sel:DWORD dst_unused:UNUSED_PAD src0_sel:WORD_1 src1_sel:DWORD
	v_add_f16_e32 v111, v111, v0
	v_fma_f16 v113, v57, s16, v112
	v_add_f16_e32 v111, v113, v111
	v_mul_f16_sdwa v113, v32, s30 dst_sel:DWORD dst_unused:UNUSED_PAD src0_sel:WORD_1 src1_sel:DWORD
	v_fma_f16 v114, v33, s18, v113
	v_add_f16_e32 v111, v114, v111
	v_mul_f16_sdwa v114, v34, s26 dst_sel:DWORD dst_unused:UNUSED_PAD src0_sel:WORD_1 src1_sel:DWORD
	;; [unrolled: 3-line block ×4, first 2 shown]
	v_fma_f16 v117, v45, s20, v116
	s_movk_i32 s34, 0x3a62
	v_add_f16_e32 v111, v117, v111
	v_mul_f16_sdwa v117, v46, s34 dst_sel:DWORD dst_unused:UNUSED_PAD src0_sel:WORD_1 src1_sel:DWORD
	v_fma_f16 v118, v49, s15, v117
	v_add_f16_e32 v111, v118, v111
	v_mul_f16_sdwa v118, v51, s19 dst_sel:DWORD dst_unused:UNUSED_PAD src0_sel:WORD_1 src1_sel:DWORD
	v_fma_f16 v119, v54, s9, v118
	v_add_f16_e32 v111, v119, v111
	v_mul_f16_e32 v119, 0xb461, v58
	v_fma_f16 v120, v17, s30, v119
	v_mul_f16_e32 v121, 0xbacd, v21
	v_add_f16_sdwa v120, v120, v0 dst_sel:DWORD dst_unused:UNUSED_PAD src0_sel:DWORD src1_sel:WORD_1
	v_fma_f16 v122, v22, s21, v121
	v_add_f16_e32 v120, v122, v120
	v_mul_f16_e32 v122, 0x39e9, v63
	v_fma_f16 v123, v32, s27, v122
	v_add_f16_e32 v120, v123, v120
	v_mul_f16_e32 v123, 0x3722, v65
	;; [unrolled: 3-line block ×6, first 2 shown]
	v_fma_f16 v128, v51, s34, v127
	v_add_f16_e32 v120, v128, v120
	v_mul_f16_sdwa v128, v17, s17 dst_sel:DWORD dst_unused:UNUSED_PAD src0_sel:WORD_1 src1_sel:DWORD
	v_fma_f16 v129, v20, s18, v128
	v_mul_f16_sdwa v130, v22, s33 dst_sel:DWORD dst_unused:UNUSED_PAD src0_sel:WORD_1 src1_sel:DWORD
	v_add_f16_e32 v129, v129, v0
	v_fma_f16 v131, v57, s20, v130
	v_add_f16_e32 v129, v131, v129
	v_mul_f16_sdwa v131, v32, s19 dst_sel:DWORD dst_unused:UNUSED_PAD src0_sel:WORD_1 src1_sel:DWORD
	v_fma_f16 v132, v33, s9, v131
	v_add_f16_e32 v129, v132, v129
	v_mul_f16_sdwa v132, v34, s23 dst_sel:DWORD dst_unused:UNUSED_PAD src0_sel:WORD_1 src1_sel:DWORD
	;; [unrolled: 3-line block ×6, first 2 shown]
	v_fma_f16 v137, v54, s15, v136
	v_add_f16_e32 v129, v137, v129
	v_mul_f16_e32 v137, 0xb8d2, v58
	v_fma_f16 v138, v17, s34, v137
	v_mul_f16_e32 v139, 0xb461, v21
	v_add_f16_sdwa v138, v138, v0 dst_sel:DWORD dst_unused:UNUSED_PAD src0_sel:DWORD src1_sel:WORD_1
	v_fma_f16 v140, v22, s17, v139
	v_add_f16_e32 v138, v140, v138
	v_mul_f16_e32 v140, 0x3b76, v63
	v_fma_f16 v141, v32, s26, v140
	v_add_f16_e32 v138, v141, v138
	v_mul_f16_e32 v141, 0xbacd, v65
	;; [unrolled: 3-line block ×6, first 2 shown]
	v_fma_f16 v146, v51, s23, v145
	v_add_f16_e32 v138, v146, v138
	v_mul_f16_sdwa v146, v17, s11 dst_sel:DWORD dst_unused:UNUSED_PAD src0_sel:WORD_1 src1_sel:DWORD
	v_fma_f16 v102, v17, s29, v102
	v_fma_f16 v147, v20, s15, v146
	v_mul_f16_sdwa v148, v22, s30 dst_sel:DWORD dst_unused:UNUSED_PAD src0_sel:WORD_1 src1_sel:DWORD
	v_add_f16_sdwa v102, v102, v0 dst_sel:DWORD dst_unused:UNUSED_PAD src0_sel:DWORD src1_sel:WORD_1
	v_fma_f16 v103, v22, s22, v103
	v_add_f16_e32 v147, v147, v0
	v_fma_f16 v149, v57, s18, v148
	v_add_f16_e32 v102, v103, v102
	;; [unrolled: 2-line block ×3, first 2 shown]
	v_mul_f16_sdwa v149, v32, s25 dst_sel:DWORD dst_unused:UNUSED_PAD src0_sel:WORD_1 src1_sel:DWORD
	v_add_f16_e32 v102, v103, v102
	v_fma_f16 v103, v34, s26, v105
	v_fma_f16 v150, v33, s8, v149
	v_add_f16_e32 v102, v103, v102
	v_fma_f16 v103, v37, s23, v106
	v_add_f16_e32 v147, v150, v147
	v_mul_f16_sdwa v150, v34, s21 dst_sel:DWORD dst_unused:UNUSED_PAD src0_sel:WORD_1 src1_sel:DWORD
	v_add_f16_e32 v102, v103, v102
	v_fma_f16 v103, v41, s21, v107
	v_fma_f16 v151, v36, s20, v150
	v_add_f16_e32 v102, v103, v102
	v_fma_f16 v103, v46, s34, v108
	v_add_f16_e32 v147, v151, v147
	v_mul_f16_sdwa v151, v37, s28 dst_sel:DWORD dst_unused:UNUSED_PAD src0_sel:WORD_1 src1_sel:DWORD
	v_add_f16_e32 v102, v103, v102
	v_fma_f16 v103, v51, s19, v109
	v_fma_f16 v152, v40, s14, v151
	v_add_f16_e32 v102, v103, v102
	v_fma_f16 v103, v20, s14, -v110
	v_add_f16_e32 v147, v152, v147
	v_mul_f16_sdwa v152, v41, s27 dst_sel:DWORD dst_unused:UNUSED_PAD src0_sel:WORD_1 src1_sel:DWORD
	v_add_f16_e32 v103, v103, v0
	v_fma_f16 v104, v57, s16, -v112
	v_fma_f16 v153, v45, s9, v152
	v_add_f16_e32 v103, v104, v103
	v_fma_f16 v104, v33, s18, -v113
	v_add_f16_e32 v147, v153, v147
	v_mul_f16_sdwa v153, v46, s22 dst_sel:DWORD dst_unused:UNUSED_PAD src0_sel:WORD_1 src1_sel:DWORD
	v_add_f16_e32 v103, v104, v103
	v_fma_f16 v104, v36, s8, -v114
	;; [unrolled: 7-line block ×3, first 2 shown]
	v_fma_f16 v155, v54, s10, v154
	v_add_f16_e32 v103, v104, v103
	v_fma_f16 v105, v49, s15, -v117
	v_add_f16_e32 v147, v155, v147
	v_mul_f16_e32 v155, 0xbacd, v58
	v_add_f16_e32 v103, v105, v103
	v_fma_f16 v106, v54, s9, -v118
	v_fma_f16 v156, v17, s33, v155
	v_mul_f16_e32 v157, 0x3722, v21
	v_add_f16_e32 v103, v106, v103
	v_mul_f16_e32 v106, 0x39e9, v58
	v_mul_f16_e32 v58, 0x3722, v58
	v_add_f16_sdwa v156, v156, v0 dst_sel:DWORD dst_unused:UNUSED_PAD src0_sel:DWORD src1_sel:WORD_1
	v_fma_f16 v158, v22, s23, v157
	v_add_f16_e32 v58, v60, v58
	v_mul_f16_e32 v60, 0xb8d2, v21
	v_add_f16_e32 v156, v158, v156
	v_mul_f16_e32 v158, 0x2de8, v63
	v_add_f16_e32 v60, v66, v60
	v_add_f16_sdwa v58, v58, v0 dst_sel:DWORD dst_unused:UNUSED_PAD src0_sel:DWORD src1_sel:WORD_1
	v_fma_f16 v159, v32, s28, v158
	v_add_f16_e32 v58, v60, v58
	v_mul_f16_e32 v60, 0xbbdd, v63
	v_add_f16_e32 v156, v159, v156
	v_mul_f16_e32 v159, 0xb8d2, v65
	v_add_f16_e32 v60, v70, v60
	v_fma_f16 v160, v34, s11, v159
	v_alignbit_b32 v104, v0, v0, 16
	v_add_f16_e32 v58, v60, v58
	v_mul_f16_e32 v60, 0xb461, v65
	v_add_f16_e32 v156, v160, v156
	v_mul_f16_e32 v160, 0x3b76, v71
	v_alignbit_b32 v43, v43, v43, 16
	v_add_f16_e32 v60, v74, v60
	v_pk_add_f16 v1, v1, v104 op_sel:[0,1] op_sel_hi:[1,0]
	v_fma_f16 v161, v37, s26, v160
	v_add_f16_e32 v58, v60, v58
	v_mul_f16_e32 v60, 0x39e9, v71
	v_pk_add_f16 v1, v43, v1
	v_add_f16_e32 v156, v161, v156
	v_mul_f16_e32 v161, 0xbbdd, v75
	v_add_f16_e32 v60, v78, v60
	v_pk_add_f16 v1, v18, v1
	v_fma_f16 v162, v41, s31, v161
	v_add_f16_e32 v58, v60, v58
	v_mul_f16_e32 v60, 0x3b76, v75
	v_pk_add_f16 v1, v15, v1
	v_add_f16_e32 v156, v162, v156
	v_mul_f16_e32 v162, 0x39e9, v77
	v_fma_f16 v155, v17, s21, v155
	v_fma_f16 v137, v17, s11, v137
	;; [unrolled: 1-line block ×3, first 2 shown]
	v_mul_f16_e32 v74, 0x2de8, v21
	v_add_f16_e32 v60, v81, v60
	v_add_f16_e32 v39, v39, v106
	v_pk_add_f16 v1, v16, v1
	v_fma_f16 v163, v46, s27, v162
	v_mul_f16_sdwa v166, v22, s24 dst_sel:DWORD dst_unused:UNUSED_PAD src0_sel:WORD_1 src1_sel:DWORD
	v_add_f16_sdwa v155, v155, v0 dst_sel:DWORD dst_unused:UNUSED_PAD src0_sel:DWORD src1_sel:WORD_1
	v_fma_f16 v157, v22, s24, v157
	v_add_f16_sdwa v137, v137, v0 dst_sel:DWORD dst_unused:UNUSED_PAD src0_sel:DWORD src1_sel:WORD_1
	v_fma_f16 v139, v22, s30, v139
	;; [unrolled: 2-line block ×3, first 2 shown]
	v_mul_f16_e32 v66, 0x3722, v20
	v_mul_f16_e32 v63, 0xb8d2, v63
	v_add_f16_e32 v58, v60, v58
	v_mul_f16_e32 v60, 0x2de8, v77
	v_add_f16_sdwa v39, v39, v0 dst_sel:DWORD dst_unused:UNUSED_PAD src0_sel:DWORD src1_sel:WORD_1
	v_add_f16_e32 v44, v44, v74
	v_pk_add_f16 v1, v13, v1
	v_add_f16_e32 v156, v163, v156
	v_mul_f16_e32 v163, 0xb461, v100
	v_fma_f16 v167, v57, s10, v166
	v_add_f16_e32 v155, v157, v155
	v_fma_f16 v157, v32, s29, v158
	v_fma_f16 v158, v57, s10, -v166
	v_add_f16_e32 v137, v139, v137
	v_fma_f16 v139, v32, s25, v140
	v_fma_f16 v140, v57, s18, -v148
	;; [unrolled: 3-line block ×3, first 2 shown]
	v_mul_f16_e32 v70, 0x39e9, v57
	v_mul_f16_e32 v57, 0xb8d2, v57
	v_add_f16_e32 v60, v87, v60
	v_mul_f16_e32 v65, 0xbbdd, v65
	v_sub_f16_e32 v47, v66, v47
	v_add_f16_e32 v39, v44, v39
	v_add_f16_e32 v44, v50, v63
	v_pk_add_f16 v1, v14, v1
	v_fma_f16 v164, v51, s30, v163
	v_add_f16_e32 v155, v157, v155
	v_fma_f16 v157, v34, s34, v159
	v_add_f16_e32 v137, v139, v137
	;; [unrolled: 2-line block ×3, first 2 shown]
	v_fma_f16 v121, v34, s23, v123
	v_mul_f16_e32 v81, 0xbbdd, v33
	v_add_f16_e32 v58, v60, v58
	v_mul_f16_e32 v60, 0xbacd, v100
	v_mul_f16_e32 v71, 0xbacd, v71
	v_sub_f16_e32 v52, v57, v52
	v_add_f16_e32 v47, v47, v0
	v_add_f16_e32 v39, v44, v39
	;; [unrolled: 1-line block ×3, first 2 shown]
	v_pk_add_f16 v1, v9, v1
	v_add_f16_e32 v156, v164, v156
	v_mul_f16_sdwa v164, v17, s21 dst_sel:DWORD dst_unused:UNUSED_PAD src0_sel:WORD_1 src1_sel:DWORD
	v_add_f16_e32 v155, v157, v155
	v_fma_f16 v157, v37, s25, v160
	v_add_f16_e32 v137, v139, v137
	v_fma_f16 v139, v37, s28, v142
	;; [unrolled: 2-line block ×3, first 2 shown]
	v_add_f16_e32 v60, v101, v60
	v_mul_f16_e32 v101, 0xb461, v36
	v_mul_f16_e32 v75, 0xb461, v75
	v_add_f16_e32 v47, v52, v47
	v_sub_f16_e32 v56, v81, v56
	v_add_f16_e32 v39, v44, v39
	v_add_f16_e32 v44, v62, v71
	v_pk_add_f16 v1, v10, v1
	v_fma_f16 v165, v20, s20, v164
	v_add_f16_e32 v155, v157, v155
	v_fma_f16 v157, v41, s22, v161
	v_add_f16_e32 v137, v139, v137
	;; [unrolled: 2-line block ×3, first 2 shown]
	v_fma_f16 v121, v41, s28, v125
	v_mul_f16_e32 v66, 0x39e9, v40
	v_mul_f16_e32 v77, 0x3722, v77
	v_add_f16_e32 v47, v56, v47
	v_sub_f16_e32 v61, v101, v61
	v_add_f16_e32 v39, v44, v39
	v_add_f16_e32 v44, v67, v75
	v_pk_add_f16 v1, v11, v1
	v_add_f16_e32 v165, v165, v0
	v_add_f16_e32 v155, v157, v155
	v_fma_f16 v157, v46, s19, v162
	v_add_f16_e32 v137, v139, v137
	v_fma_f16 v139, v46, s22, v144
	;; [unrolled: 2-line block ×3, first 2 shown]
	v_mul_f16_e32 v52, 0x3b76, v45
	v_mul_f16_e32 v100, 0x3b76, v100
	v_add_f16_e32 v47, v61, v47
	v_sub_f16_e32 v66, v66, v68
	v_add_f16_e32 v39, v44, v39
	v_add_f16_e32 v44, v73, v77
	v_pk_add_f16 v1, v12, v1
	v_add_f16_e32 v165, v167, v165
	v_mul_f16_sdwa v167, v32, s29 dst_sel:DWORD dst_unused:UNUSED_PAD src0_sel:WORD_1 src1_sel:DWORD
	v_add_f16_e32 v155, v157, v155
	v_fma_f16 v157, v51, s17, v163
	v_add_f16_e32 v137, v139, v137
	v_fma_f16 v139, v51, s24, v145
	;; [unrolled: 2-line block ×3, first 2 shown]
	v_mul_f16_e32 v105, 0x3b76, v20
	v_mul_f16_e32 v56, 0x2de8, v49
	v_add_f16_e32 v47, v66, v47
	v_sub_f16_e32 v52, v52, v72
	v_add_f16_e32 v39, v44, v39
	v_add_f16_e32 v44, v90, v100
	s_mov_b32 s23, 0xffff
	v_pk_add_f16 v1, v7, v1
	v_fma_f16 v168, v33, s14, v167
	v_add_f16_e32 v155, v157, v155
	v_fma_f16 v157, v20, s20, -v164
	v_add_f16_e32 v137, v139, v137
	v_fma_f16 v139, v20, s15, -v146
	;; [unrolled: 2-line block ×3, first 2 shown]
	v_mul_f16_e32 v61, 0xbacd, v54
	v_add_f16_e32 v47, v52, v47
	v_sub_f16_e32 v52, v56, v76
	v_add_f16_e32 v39, v44, v39
	v_bfi_b32 v44, s23, v79, v91
	v_sub_f16_e32 v35, v105, v35
	v_pk_add_f16 v1, v8, v1
	v_add_f16_e32 v165, v168, v165
	v_mul_f16_sdwa v168, v34, s34 dst_sel:DWORD dst_unused:UNUSED_PAD src0_sel:WORD_1 src1_sel:DWORD
	v_add_f16_e32 v157, v157, v0
	v_add_f16_e32 v139, v139, v0
	;; [unrolled: 1-line block ×3, first 2 shown]
	v_mul_f16_e32 v78, 0x3722, v33
	v_add_f16_e32 v47, v52, v47
	v_sub_f16_e32 v52, v61, v99
	v_bfi_b32 v50, s23, v80, v92
	v_add_f16_e32 v0, v35, v0
	v_sub_f16_e32 v35, v70, v38
	v_pk_add_f16 v1, v2, v1
	v_pk_add_f16 v2, v44, v104
	v_fma_f16 v169, v36, s15, v168
	v_mul_f16_e32 v87, 0x2de8, v36
	v_add_f16_e32 v47, v52, v47
	v_bfi_b32 v52, s23, v82, v93
	v_add_f16_e32 v0, v35, v0
	v_sub_f16_e32 v35, v78, v42
	v_pk_add_f16 v2, v50, v2
	v_add_f16_e32 v165, v169, v165
	v_mul_f16_sdwa v169, v37, s25 dst_sel:DWORD dst_unused:UNUSED_PAD src0_sel:WORD_1 src1_sel:DWORD
	v_add_f16_e32 v58, v60, v58
	v_mul_f16_e32 v60, 0xb461, v40
	v_bfi_b32 v55, s23, v83, v94
	v_add_f16_e32 v0, v35, v0
	v_sub_f16_e32 v35, v87, v48
	v_pk_add_f16 v2, v52, v2
	v_fma_f16 v170, v40, s8, v169
	v_add_f16_e32 v139, v140, v139
	v_fma_f16 v140, v33, s8, -v149
	v_add_f16_e32 v121, v122, v121
	v_fma_f16 v122, v33, s9, -v131
	v_mul_f16_e32 v57, 0xb8d2, v45
	v_bfi_b32 v56, s23, v84, v95
	v_add_f16_e32 v0, v35, v0
	v_sub_f16_e32 v35, v60, v53
	v_pk_add_f16 v2, v55, v2
	v_add_f16_e32 v165, v170, v165
	v_mul_f16_sdwa v170, v41, s22 dst_sel:DWORD dst_unused:UNUSED_PAD src0_sel:WORD_1 src1_sel:DWORD
	v_add_f16_e32 v157, v158, v157
	v_fma_f16 v158, v33, s14, -v167
	v_add_f16_e32 v139, v140, v139
	v_fma_f16 v140, v36, s20, -v150
	;; [unrolled: 2-line block ×3, first 2 shown]
	v_mul_f16_e32 v81, 0xbacd, v49
	v_bfi_b32 v61, s23, v85, v96
	v_add_f16_e32 v0, v35, v0
	v_sub_f16_e32 v35, v57, v59
	v_pk_add_f16 v2, v56, v2
	v_fma_f16 v171, v45, s16, v170
	v_add_f16_e32 v157, v158, v157
	v_fma_f16 v158, v36, s15, -v168
	v_add_f16_e32 v139, v140, v139
	v_fma_f16 v140, v40, s14, -v151
	;; [unrolled: 2-line block ×3, first 2 shown]
	v_mul_f16_e32 v101, 0xbbdd, v54
	v_bfi_b32 v62, s23, v86, v97
	v_add_f16_e32 v0, v35, v0
	v_sub_f16_e32 v35, v81, v64
	v_pk_add_f16 v2, v61, v2
	v_add_f16_e32 v165, v171, v165
	v_mul_f16_sdwa v171, v46, s19 dst_sel:DWORD dst_unused:UNUSED_PAD src0_sel:WORD_1 src1_sel:DWORD
	v_add_f16_e32 v157, v158, v157
	v_fma_f16 v158, v40, s8, -v169
	v_add_f16_e32 v139, v140, v139
	v_fma_f16 v140, v45, s9, -v152
	;; [unrolled: 2-line block ×3, first 2 shown]
	v_bfi_b32 v63, s23, v89, v98
	v_add_f16_e32 v0, v35, v0
	v_sub_f16_e32 v35, v101, v69
	v_pk_add_f16 v2, v62, v2
	v_fma_f16 v172, v49, s9, v171
	v_add_f16_e32 v157, v158, v157
	v_fma_f16 v158, v45, s16, -v170
	v_add_f16_e32 v139, v140, v139
	v_fma_f16 v140, v49, s16, -v153
	;; [unrolled: 2-line block ×3, first 2 shown]
	v_add_f16_e32 v0, v35, v0
	v_pk_add_f16 v2, v63, v2
	v_add_f16_e32 v165, v172, v165
	v_mul_f16_sdwa v172, v51, s17 dst_sel:DWORD dst_unused:UNUSED_PAD src0_sel:WORD_1 src1_sel:DWORD
	v_add_f16_e32 v157, v158, v157
	v_fma_f16 v158, v49, s9, -v171
	v_add_f16_e32 v139, v140, v139
	v_fma_f16 v140, v54, s10, -v154
	;; [unrolled: 2-line block ×3, first 2 shown]
	v_add_lshl_u32 v15, v25, v27, 2
	v_pk_add_f16 v1, v3, v1
	v_alignbit_b32 v3, v39, v2, 16
	v_pack_b32_f16 v0, v0, v2
	v_add_f16_e32 v157, v158, v157
	v_fma_f16 v158, v54, s18, -v172
	v_add_f16_e32 v139, v140, v139
	v_add_f16_e32 v121, v122, v121
	ds_write2_b32 v15, v0, v3 offset0:1 offset1:2
	v_pack_b32_f16 v0, v47, v58
	v_pack_b32_f16 v2, v103, v102
	v_add_f16_e32 v157, v158, v157
	ds_write2_b32 v15, v0, v2 offset0:3 offset1:4
	v_pack_b32_f16 v0, v139, v137
	v_pack_b32_f16 v2, v121, v119
	v_pk_add_f16 v1, v19, v1
	ds_write2_b32 v15, v2, v0 offset0:5 offset1:6
	v_pack_b32_f16 v0, v157, v155
	ds_write2_b32 v15, v1, v0 offset1:7
	v_pk_mul_f16 v0, v20, s16 op_sel_hi:[1,0]
	v_pk_fma_f16 v1, v17, s22, v0 op_sel:[0,0,1] op_sel_hi:[1,0,0] neg_lo:[1,0,0] neg_hi:[1,0,0]
	v_pk_mul_f16 v2, v22, s26 op_sel_hi:[1,0]
	v_pk_add_f16 v1, v1, v104
	v_pk_fma_f16 v3, v21, s8, v2 op_sel_hi:[1,0,1] neg_lo:[0,0,1] neg_hi:[0,0,1]
	v_pk_add_f16 v1, v3, v1
	v_pk_mul_f16 v3, v33, s20 op_sel_hi:[1,0]
	v_pk_fma_f16 v7, v32, s21, v3 op_sel:[0,0,1] op_sel_hi:[1,0,0] neg_lo:[1,0,0] neg_hi:[1,0,0]
	v_pk_add_f16 v1, v7, v1
	v_pk_mul_f16 v7, v36, s9 op_sel_hi:[1,0]
	v_pk_fma_f16 v8, v34, s19, v7 op_sel:[0,0,1] op_sel_hi:[1,0,0] neg_lo:[1,0,0] neg_hi:[1,0,0]
	v_pk_add_f16 v1, v8, v1
	v_pk_mul_f16 v8, v40, s15 op_sel_hi:[1,0]
	v_pk_fma_f16 v0, v17, s22, v0 op_sel:[0,0,1] op_sel_hi:[1,0,0]
	v_pk_fma_f16 v9, v37, s11, v8 op_sel:[0,0,1] op_sel_hi:[1,0,0] neg_lo:[1,0,0] neg_hi:[1,0,0]
	v_pk_add_f16 v0, v0, v104
	v_pk_fma_f16 v2, v21, s8, v2 op_sel_hi:[1,0,1]
	v_pk_add_f16 v1, v9, v1
	v_pk_mul_f16 v9, v45, s10 op_sel_hi:[1,0]
	v_pk_add_f16 v0, v2, v0
	v_pk_fma_f16 v2, v32, s21, v3 op_sel:[0,0,1] op_sel_hi:[1,0,0]
	v_pk_fma_f16 v10, v41, s24, v9 op_sel:[0,0,1] op_sel_hi:[1,0,0] neg_lo:[1,0,0] neg_hi:[1,0,0]
	v_pk_add_f16 v0, v2, v0
	v_pk_fma_f16 v2, v34, s19, v7 op_sel:[0,0,1] op_sel_hi:[1,0,0]
	v_pk_add_f16 v1, v10, v1
	v_pk_mul_f16 v10, v49, s18 op_sel_hi:[1,0]
	v_pk_add_f16 v0, v2, v0
	v_pk_fma_f16 v2, v37, s11, v8 op_sel:[0,0,1] op_sel_hi:[1,0,0]
	v_pk_fma_f16 v11, v46, s17, v10 op_sel:[0,0,1] op_sel_hi:[1,0,0] neg_lo:[1,0,0] neg_hi:[1,0,0]
	v_pk_add_f16 v0, v2, v0
	v_pk_fma_f16 v2, v41, s24, v9 op_sel:[0,0,1] op_sel_hi:[1,0,0]
	;; [unrolled: 7-line block ×3, first 2 shown]
	v_fma_f16 v173, v54, s18, v172
	v_pk_add_f16 v1, v12, v1
	v_pk_add_f16 v0, v2, v0
	v_add_f16_e32 v165, v173, v165
	v_alignbit_b32 v2, v1, v0, 16
	v_alignbit_b32 v0, v0, v1, 16
	ds_write2_b32 v15, v0, v2 offset0:8 offset1:9
	v_pack_b32_f16 v0, v147, v138
	v_pack_b32_f16 v1, v165, v156
	ds_write2_b32 v15, v1, v0 offset0:10 offset1:11
	v_pack_b32_f16 v0, v111, v88
	v_pack_b32_f16 v1, v129, v120
	s_mov_b32 s8, 0x5040100
	ds_write2_b32 v15, v1, v0 offset0:12 offset1:13
	v_perm_b32 v0, v29, v6, s8
	v_perm_b32 v1, v30, v5, s8
	ds_write2_b32 v15, v1, v0 offset0:14 offset1:15
	v_perm_b32 v0, v31, v28, s8
	ds_write_b32 v15, v0 offset:64
.LBB0_7:
	s_or_b64 exec, exec, s[4:5]
	s_load_dwordx4 s[8:11], s[0:1], 0x0
	s_movk_i32 s0, 0xffef
	v_add_co_u32_e64 v0, s[0:1], s0, v23
	v_addc_co_u32_e64 v1, s[0:1], 0, -1, s[0:1]
	v_cmp_gt_u16_e64 s[0:1], 17, v23
	v_cndmask_b32_e64 v1, v1, 0, s[0:1]
	v_cndmask_b32_e64 v0, v0, v23, s[0:1]
	v_lshlrev_b64 v[1:2], 2, v[0:1]
	v_mov_b32_e32 v3, s3
	v_add_co_u32_e64 v1, s[0:1], s2, v1
	v_addc_co_u32_e64 v2, s[0:1], v3, v2, s[0:1]
	v_add_u16_e32 v3, 34, v23
	s_movk_i32 s0, 0xf1
	v_mul_lo_u16_sdwa v7, v3, s0 dst_sel:DWORD dst_unused:UNUSED_PAD src0_sel:BYTE_0 src1_sel:DWORD
	v_lshrrev_b16_e32 v20, 12, v7
	v_mul_lo_u16_e32 v7, 17, v20
	v_sub_u16_e32 v3, v3, v7
	v_mov_b32_e32 v7, 2
	v_lshlrev_b32_sdwa v8, v7, v3 dst_sel:DWORD dst_unused:UNUSED_PAD src0_sel:DWORD src1_sel:BYTE_0
	s_waitcnt lgkmcnt(0)
	s_barrier
	v_add_u16_e32 v9, 0x44, v23
	global_load_dword v34, v[1:2], off
	global_load_dword v35, v8, s[2:3]
	v_add_u16_e32 v1, 0x88, v23
	v_mul_lo_u16_sdwa v10, v9, s0 dst_sel:DWORD dst_unused:UNUSED_PAD src0_sel:BYTE_0 src1_sel:DWORD
	v_mul_lo_u16_sdwa v2, v1, s0 dst_sel:DWORD dst_unused:UNUSED_PAD src0_sel:BYTE_0 src1_sel:DWORD
	v_lshrrev_b16_e32 v21, 12, v10
	v_lshrrev_b16_e32 v45, 12, v2
	v_mul_lo_u16_e32 v10, 17, v21
	v_mul_lo_u16_e32 v2, 17, v45
	v_sub_u16_e32 v22, v9, v10
	v_add_u16_e32 v10, 0x66, v23
	v_sub_u16_e32 v46, v1, v2
	v_add_u16_e32 v2, 0xaa, v23
	v_mul_lo_u16_sdwa v11, v10, s0 dst_sel:DWORD dst_unused:UNUSED_PAD src0_sel:BYTE_0 src1_sel:DWORD
	v_mul_lo_u16_sdwa v8, v2, s0 dst_sel:DWORD dst_unused:UNUSED_PAD src0_sel:BYTE_0 src1_sel:DWORD
	v_lshrrev_b16_e32 v33, 12, v11
	v_lshrrev_b16_e32 v47, 12, v8
	v_lshlrev_b32_sdwa v9, v7, v22 dst_sel:DWORD dst_unused:UNUSED_PAD src0_sel:DWORD src1_sel:BYTE_0
	v_mul_lo_u16_e32 v11, 17, v33
	v_mul_lo_u16_e32 v8, 17, v47
	v_sub_u16_e32 v44, v10, v11
	global_load_dword v36, v9, s[2:3]
	v_sub_u16_e32 v48, v2, v8
	v_lshlrev_b32_sdwa v10, v7, v44 dst_sel:DWORD dst_unused:UNUSED_PAD src0_sel:DWORD src1_sel:BYTE_0
	v_lshlrev_b32_sdwa v1, v7, v46 dst_sel:DWORD dst_unused:UNUSED_PAD src0_sel:DWORD src1_sel:BYTE_0
	;; [unrolled: 1-line block ×3, first 2 shown]
	global_load_dword v37, v10, s[2:3]
	global_load_dword v39, v2, s[2:3]
	;; [unrolled: 1-line block ×3, first 2 shown]
	v_add_u16_e32 v1, 0xcc, v23
	v_mul_lo_u16_sdwa v8, v1, s0 dst_sel:DWORD dst_unused:UNUSED_PAD src0_sel:BYTE_0 src1_sel:DWORD
	v_lshrrev_b16_e32 v49, 12, v8
	v_mul_lo_u16_e32 v2, 17, v49
	v_sub_u16_e32 v50, v1, v2
	v_lshlrev_b32_sdwa v1, v7, v50 dst_sel:DWORD dst_unused:UNUSED_PAD src0_sel:DWORD src1_sel:BYTE_0
	global_load_dword v40, v1, s[2:3]
	v_add_lshl_u32 v32, v25, v23, 2
	ds_read2_b32 v[1:2], v32 offset1:34
	ds_read2_b32 v[7:8], v32 offset0:204 offset1:238
	v_add_u32_e32 v9, 0x400, v32
	ds_read2_b32 v[10:11], v32 offset0:68 offset1:102
	ds_read2_b32 v[12:13], v32 offset0:136 offset1:170
	;; [unrolled: 1-line block ×5, first 2 shown]
	v_cmp_lt_u16_e64 s[0:1], 16, v23
	s_waitcnt lgkmcnt(6)
	v_lshrrev_b32_e32 v41, 16, v1
	s_waitcnt lgkmcnt(5)
	v_lshrrev_b32_e32 v42, 16, v8
	;; [unrolled: 2-line block ×3, first 2 shown]
	v_lshrrev_b32_e32 v57, 16, v15
	s_waitcnt lgkmcnt(1)
	v_lshrrev_b32_e32 v58, 16, v16
	v_lshrrev_b32_e32 v59, 16, v17
	s_waitcnt lgkmcnt(0)
	v_lshrrev_b32_e32 v60, 16, v18
	v_lshrrev_b32_e32 v61, 16, v19
	;; [unrolled: 1-line block ×3, first 2 shown]
	s_waitcnt vmcnt(0)
	s_barrier
	v_lshrrev_b32_e32 v51, 16, v10
	v_lshrrev_b32_e32 v52, 16, v11
	;; [unrolled: 1-line block ×5, first 2 shown]
	s_mov_b32 s4, 0xb9e0
	s_movk_i32 s5, 0x3574
	s_mov_b32 s14, 0xb574
	s_movk_i32 s15, 0x370e
	v_mul_f16_sdwa v62, v42, v34 dst_sel:DWORD dst_unused:UNUSED_PAD src0_sel:DWORD src1_sel:WORD_1
	v_fma_f16 v62, v8, v34, -v62
	v_mul_f16_sdwa v8, v8, v34 dst_sel:DWORD dst_unused:UNUSED_PAD src0_sel:DWORD src1_sel:WORD_1
	v_fma_f16 v8, v42, v34, v8
	v_mul_f16_sdwa v42, v56, v35 dst_sel:DWORD dst_unused:UNUSED_PAD src0_sel:DWORD src1_sel:WORD_1
	v_fma_f16 v42, v14, v35, -v42
	v_mul_f16_sdwa v14, v14, v35 dst_sel:DWORD dst_unused:UNUSED_PAD src0_sel:DWORD src1_sel:WORD_1
	v_fma_f16 v14, v56, v35, v14
	v_sub_f16_e32 v8, v41, v8
	v_sub_f16_e32 v63, v2, v42
	;; [unrolled: 1-line block ×3, first 2 shown]
	v_fma_f16 v2, v2, 2.0, -v63
	v_fma_f16 v43, v43, 2.0, -v14
	v_mul_f16_sdwa v56, v57, v36 dst_sel:DWORD dst_unused:UNUSED_PAD src0_sel:DWORD src1_sel:WORD_1
	v_fma_f16 v56, v15, v36, -v56
	v_mul_f16_sdwa v15, v15, v36 dst_sel:DWORD dst_unused:UNUSED_PAD src0_sel:DWORD src1_sel:WORD_1
	v_fma_f16 v15, v57, v36, v15
	v_sub_f16_e32 v56, v10, v56
	v_mul_f16_sdwa v57, v58, v37 dst_sel:DWORD dst_unused:UNUSED_PAD src0_sel:DWORD src1_sel:WORD_1
	v_fma_f16 v57, v16, v37, -v57
	v_mul_f16_sdwa v16, v16, v37 dst_sel:DWORD dst_unused:UNUSED_PAD src0_sel:DWORD src1_sel:WORD_1
	v_fma_f16 v16, v58, v37, v16
	v_mul_f16_sdwa v58, v59, v38 dst_sel:DWORD dst_unused:UNUSED_PAD src0_sel:DWORD src1_sel:WORD_1
	v_fma_f16 v58, v17, v38, -v58
	v_mul_f16_sdwa v17, v17, v38 dst_sel:DWORD dst_unused:UNUSED_PAD src0_sel:DWORD src1_sel:WORD_1
	v_fma_f16 v17, v59, v38, v17
	;; [unrolled: 4-line block ×4, first 2 shown]
	v_sub_f16_e32 v61, v1, v62
	v_fma_f16 v62, v41, 2.0, -v8
	v_cndmask_b32_e64 v41, 0, 34, s[0:1]
	v_fma_f16 v1, v1, 2.0, -v61
	v_add_u32_e32 v0, v0, v41
	v_add_lshl_u32 v41, v25, v0, 2
	v_pack_b32_f16 v0, v1, v62
	v_pack_b32_f16 v1, v61, v8
	ds_write2_b32 v41, v0, v1 offset1:17
	v_mad_legacy_u16 v0, v20, 34, v3
	v_and_b32_e32 v0, 0xff, v0
	v_add_lshl_u32 v42, v25, v0, 2
	v_pack_b32_f16 v0, v2, v43
	v_pack_b32_f16 v1, v63, v14
	v_sub_f16_e32 v15, v51, v15
	ds_write2_b32 v42, v0, v1 offset1:17
	v_mul_u32_u24_e32 v0, 34, v21
	v_fma_f16 v10, v10, 2.0, -v56
	v_fma_f16 v51, v51, 2.0, -v15
	v_add_u32_sdwa v0, v0, v22 dst_sel:DWORD dst_unused:UNUSED_PAD src0_sel:DWORD src1_sel:BYTE_0
	v_add_lshl_u32 v43, v25, v0, 2
	v_pack_b32_f16 v0, v10, v51
	v_pack_b32_f16 v1, v56, v15
	v_sub_f16_e32 v57, v11, v57
	v_sub_f16_e32 v16, v52, v16
	ds_write2_b32 v43, v0, v1 offset1:17
	v_mul_u32_u24_e32 v0, 34, v33
	v_fma_f16 v11, v11, 2.0, -v57
	v_fma_f16 v52, v52, 2.0, -v16
	v_add_u32_sdwa v0, v0, v44 dst_sel:DWORD dst_unused:UNUSED_PAD src0_sel:DWORD src1_sel:BYTE_0
	v_add_lshl_u32 v44, v25, v0, 2
	v_pack_b32_f16 v0, v11, v52
	v_pack_b32_f16 v1, v57, v16
	v_sub_f16_e32 v58, v12, v58
	;; [unrolled: 10-line block ×3, first 2 shown]
	v_sub_f16_e32 v18, v54, v18
	ds_write2_b32 v45, v0, v1 offset1:17
	v_mul_u32_u24_e32 v0, 34, v47
	v_fma_f16 v13, v13, 2.0, -v59
	v_fma_f16 v54, v54, 2.0, -v18
	v_add_u32_sdwa v0, v0, v48 dst_sel:DWORD dst_unused:UNUSED_PAD src0_sel:DWORD src1_sel:BYTE_0
	v_add_lshl_u32 v46, v25, v0, 2
	v_pack_b32_f16 v0, v13, v54
	v_pack_b32_f16 v1, v59, v18
	v_mad_u64_u32 v[10:11], s[0:1], v23, 24, s[2:3]
	v_sub_f16_e32 v60, v7, v60
	v_sub_f16_e32 v19, v55, v19
	ds_write2_b32 v46, v0, v1 offset1:17
	v_mul_u32_u24_e32 v0, 34, v49
	v_fma_f16 v7, v7, 2.0, -v60
	v_fma_f16 v55, v55, 2.0, -v19
	v_add_u32_sdwa v0, v0, v50 dst_sel:DWORD dst_unused:UNUSED_PAD src0_sel:DWORD src1_sel:BYTE_0
	v_add_lshl_u32 v47, v25, v0, 2
	v_pack_b32_f16 v0, v7, v55
	v_pack_b32_f16 v1, v60, v19
	ds_write2_b32 v47, v0, v1 offset1:17
	s_waitcnt lgkmcnt(0)
	s_barrier
	global_load_dwordx4 v[0:3], v[10:11], off offset:68
	global_load_dwordx2 v[7:8], v[10:11], off offset:84
	ds_read2_b32 v[12:13], v32 offset0:68 offset1:102
	ds_read2_b32 v[14:15], v32 offset1:34
	ds_read2_b32 v[16:17], v32 offset0:136 offset1:170
	ds_read2_b32 v[18:19], v32 offset0:204 offset1:238
	;; [unrolled: 1-line block ×5, first 2 shown]
	s_waitcnt lgkmcnt(4)
	v_lshrrev_b32_e32 v33, 16, v16
	s_waitcnt lgkmcnt(3)
	v_lshrrev_b32_e32 v52, 16, v18
	v_lshrrev_b32_e32 v22, 16, v12
	s_waitcnt lgkmcnt(2)
	v_lshrrev_b32_e32 v53, 16, v20
	s_waitcnt lgkmcnt(1)
	;; [unrolled: 2-line block ×3, first 2 shown]
	v_lshrrev_b32_e32 v55, 16, v50
	v_lshrrev_b32_e32 v56, 16, v13
	;; [unrolled: 1-line block ×7, first 2 shown]
	s_movk_i32 s0, 0x2b26
	s_movk_i32 s1, 0x3b00
	s_mov_b32 s2, 0xbcab
	s_movk_i32 s3, 0x39e0
	s_waitcnt vmcnt(0)
	s_barrier
	v_mul_f16_sdwa v62, v22, v0 dst_sel:DWORD dst_unused:UNUSED_PAD src0_sel:DWORD src1_sel:WORD_1
	v_fma_f16 v62, v12, v0, -v62
	v_mul_f16_sdwa v12, v12, v0 dst_sel:DWORD dst_unused:UNUSED_PAD src0_sel:DWORD src1_sel:WORD_1
	v_fma_f16 v12, v22, v0, v12
	v_mul_f16_sdwa v22, v33, v1 dst_sel:DWORD dst_unused:UNUSED_PAD src0_sel:DWORD src1_sel:WORD_1
	v_fma_f16 v22, v16, v1, -v22
	v_mul_f16_sdwa v16, v16, v1 dst_sel:DWORD dst_unused:UNUSED_PAD src0_sel:DWORD src1_sel:WORD_1
	v_fma_f16 v16, v33, v1, v16
	;; [unrolled: 4-line block ×12, first 2 shown]
	v_add_f16_e32 v61, v62, v54
	v_add_f16_e32 v63, v12, v50
	v_sub_f16_e32 v54, v62, v54
	v_sub_f16_e32 v12, v12, v50
	v_add_f16_e32 v50, v22, v53
	v_add_f16_e32 v62, v16, v48
	v_sub_f16_e32 v22, v22, v53
	v_sub_f16_e32 v16, v16, v48
	;; [unrolled: 4-line block ×4, first 2 shown]
	v_sub_f16_e32 v61, v61, v48
	v_sub_f16_e32 v63, v63, v53
	;; [unrolled: 1-line block ×4, first 2 shown]
	v_add_f16_e32 v66, v33, v22
	v_add_f16_e32 v67, v18, v16
	v_sub_f16_e32 v68, v33, v22
	v_sub_f16_e32 v69, v18, v16
	;; [unrolled: 1-line block ×4, first 2 shown]
	v_add_f16_e32 v20, v48, v20
	v_add_f16_e32 v48, v53, v52
	v_sub_f16_e32 v33, v54, v33
	v_sub_f16_e32 v18, v12, v18
	v_add_f16_e32 v52, v66, v54
	v_add_f16_e32 v12, v67, v12
	;; [unrolled: 1-line block ×3, first 2 shown]
	v_add_f16_sdwa v14, v14, v48 dst_sel:DWORD dst_unused:UNUSED_PAD src0_sel:WORD_1 src1_sel:DWORD
	v_mul_f16_e32 v54, 0x3a52, v61
	v_mul_f16_e32 v61, 0x3a52, v63
	v_mul_f16_e32 v63, 0x2b26, v50
	v_mul_f16_e32 v66, 0x2b26, v62
	v_mul_f16_e32 v67, 0xb846, v68
	v_mul_f16_e32 v68, 0xb846, v69
	v_mul_f16_e32 v69, 0x3b00, v22
	v_mul_f16_e32 v70, 0x3b00, v16
	v_fma_f16 v20, v20, s2, v53
	v_fma_f16 v48, v48, s2, v14
	;; [unrolled: 1-line block ×4, first 2 shown]
	v_fma_f16 v63, v64, s3, -v63
	v_fma_f16 v66, v65, s3, -v66
	;; [unrolled: 1-line block ×4, first 2 shown]
	v_fma_f16 v64, v33, s5, v67
	v_fma_f16 v65, v18, s5, v68
	v_fma_f16 v16, v16, s1, -v68
	v_fma_f16 v33, v33, s14, -v69
	;; [unrolled: 1-line block ×4, first 2 shown]
	v_add_f16_e32 v50, v50, v20
	v_add_f16_e32 v62, v62, v48
	;; [unrolled: 1-line block ×6, first 2 shown]
	v_fma_f16 v54, v52, s15, v64
	v_fma_f16 v61, v12, s15, v65
	;; [unrolled: 1-line block ×6, first 2 shown]
	v_add_f16_e32 v18, v61, v50
	v_sub_f16_e32 v52, v62, v54
	v_add_f16_e32 v64, v12, v20
	v_sub_f16_e32 v65, v48, v33
	v_sub_f16_e32 v12, v20, v12
	v_add_f16_e32 v20, v33, v48
	v_sub_f16_e32 v33, v50, v61
	v_add_f16_e32 v48, v54, v62
	v_add_f16_e32 v50, v55, v60
	;; [unrolled: 1-line block ×3, first 2 shown]
	v_sub_f16_e32 v55, v55, v60
	v_sub_f16_e32 v13, v13, v51
	v_add_f16_e32 v51, v56, v59
	v_add_f16_e32 v60, v17, v49
	v_sub_f16_e32 v56, v56, v59
	v_sub_f16_e32 v17, v17, v49
	v_add_f16_e32 v49, v57, v58
	v_add_f16_e32 v59, v19, v21
	;; [unrolled: 4-line block ×3, first 2 shown]
	v_sub_f16_e32 v67, v63, v16
	v_add_f16_e32 v68, v22, v66
	v_add_f16_e32 v16, v16, v63
	v_sub_f16_e32 v22, v66, v22
	v_sub_f16_e32 v61, v51, v50
	;; [unrolled: 1-line block ×7, first 2 shown]
	v_add_f16_e32 v63, v57, v56
	v_add_f16_e32 v66, v19, v17
	v_sub_f16_e32 v69, v57, v56
	v_sub_f16_e32 v70, v19, v17
	;; [unrolled: 1-line block ×4, first 2 shown]
	v_add_f16_e32 v21, v49, v21
	v_add_f16_e32 v49, v59, v58
	v_sub_f16_e32 v57, v55, v57
	v_sub_f16_e32 v19, v13, v19
	v_add_f16_e32 v55, v63, v55
	v_add_f16_e32 v13, v66, v13
	;; [unrolled: 1-line block ×3, first 2 shown]
	v_add_f16_sdwa v15, v15, v49 dst_sel:DWORD dst_unused:UNUSED_PAD src0_sel:WORD_1 src1_sel:DWORD
	v_mul_f16_e32 v50, 0x3a52, v50
	v_mul_f16_e32 v54, 0x3a52, v54
	;; [unrolled: 1-line block ×8, first 2 shown]
	v_pack_b32_f16 v14, v53, v14
	v_pack_b32_f16 v18, v18, v52
	v_fma_f16 v21, v21, s2, v58
	v_fma_f16 v49, v49, s2, v15
	;; [unrolled: 1-line block ×4, first 2 shown]
	v_fma_f16 v59, v61, s3, -v59
	v_fma_f16 v63, v62, s3, -v63
	;; [unrolled: 1-line block ×4, first 2 shown]
	v_fma_f16 v61, v57, s5, v66
	v_fma_f16 v62, v19, s5, v69
	v_fma_f16 v56, v56, s1, -v66
	v_fma_f16 v17, v17, s1, -v69
	;; [unrolled: 1-line block ×4, first 2 shown]
	ds_write2_b32 v32, v14, v18 offset1:34
	v_pack_b32_f16 v14, v64, v65
	v_pack_b32_f16 v18, v67, v68
	v_add_f16_e32 v51, v51, v21
	v_add_f16_e32 v60, v60, v49
	;; [unrolled: 1-line block ×6, first 2 shown]
	v_fma_f16 v50, v55, s15, v61
	v_fma_f16 v54, v13, s15, v62
	;; [unrolled: 1-line block ×6, first 2 shown]
	ds_write2_b32 v32, v14, v18 offset0:68 offset1:102
	v_pack_b32_f16 v14, v16, v22
	v_pack_b32_f16 v12, v12, v20
	v_add_f16_e32 v19, v54, v51
	v_sub_f16_e32 v57, v60, v50
	v_add_f16_e32 v61, v13, v21
	v_sub_f16_e32 v62, v49, v55
	ds_write2_b32 v32, v14, v12 offset0:136 offset1:170
	v_pack_b32_f16 v12, v33, v48
	v_pack_b32_f16 v14, v58, v15
	v_sub_f16_e32 v66, v59, v17
	v_add_f16_e32 v69, v56, v63
	v_add_f16_e32 v17, v17, v59
	v_sub_f16_e32 v56, v63, v56
	ds_write2_b32 v32, v12, v14 offset0:204 offset1:238
	v_pack_b32_f16 v12, v19, v57
	v_pack_b32_f16 v14, v61, v62
	v_sub_f16_e32 v13, v21, v13
	v_add_f16_e32 v21, v55, v49
	v_sub_f16_e32 v49, v51, v54
	v_add_f16_e32 v50, v50, v60
	ds_write2_b32 v9, v12, v14 offset0:16 offset1:50
	v_pack_b32_f16 v12, v66, v69
	v_pack_b32_f16 v14, v17, v56
	ds_write2_b32 v9, v12, v14 offset0:84 offset1:118
	v_pack_b32_f16 v12, v13, v21
	v_pack_b32_f16 v13, v49, v50
	ds_write2_b32 v9, v12, v13 offset0:152 offset1:186
	v_mul_i32_i24_e32 v13, 0xffffffec, v23
	v_mul_hi_i32_i24_e32 v12, 0xffffffec, v23
	v_add_co_u32_e64 v10, s[0:1], v10, v13
	v_addc_co_u32_e64 v11, s[0:1], v11, v12, s[0:1]
	s_waitcnt lgkmcnt(0)
	s_barrier
	global_load_dword v48, v[10:11], off offset:884
	global_load_dword v49, v[10:11], off offset:1020
	global_load_dword v50, v[10:11], off offset:1156
	global_load_dword v51, v[10:11], off offset:1292
	global_load_dword v52, v[10:11], off offset:1428
	global_load_dword v53, v[10:11], off offset:1564
	global_load_dword v54, v[10:11], off offset:1700
	ds_read2_b32 v[12:13], v32 offset1:34
	ds_read2_b32 v[21:22], v32 offset0:204 offset1:238
	ds_read2_b32 v[10:11], v9 offset0:16 offset1:50
	;; [unrolled: 1-line block ×6, first 2 shown]
	s_waitcnt lgkmcnt(5)
	v_lshrrev_b32_e32 v33, 16, v22
	s_waitcnt lgkmcnt(4)
	v_lshrrev_b32_e32 v58, 16, v10
	v_lshrrev_b32_e32 v60, 16, v11
	s_waitcnt lgkmcnt(2)
	v_lshrrev_b32_e32 v9, 16, v14
	;; [unrolled: 3-line block ×3, first 2 shown]
	v_lshrrev_b32_e32 v63, 16, v19
	v_lshrrev_b32_e32 v20, 16, v12
	;; [unrolled: 1-line block ×8, first 2 shown]
	s_waitcnt vmcnt(6)
	v_mul_f16_sdwa v64, v33, v48 dst_sel:DWORD dst_unused:UNUSED_PAD src0_sel:DWORD src1_sel:WORD_1
	v_fma_f16 v64, v22, v48, -v64
	v_mul_f16_sdwa v22, v22, v48 dst_sel:DWORD dst_unused:UNUSED_PAD src0_sel:DWORD src1_sel:WORD_1
	v_fma_f16 v22, v33, v48, v22
	s_waitcnt vmcnt(5)
	v_mul_f16_sdwa v33, v58, v49 dst_sel:DWORD dst_unused:UNUSED_PAD src0_sel:DWORD src1_sel:WORD_1
	v_fma_f16 v33, v10, v49, -v33
	v_mul_f16_sdwa v10, v10, v49 dst_sel:DWORD dst_unused:UNUSED_PAD src0_sel:DWORD src1_sel:WORD_1
	v_fma_f16 v58, v58, v49, v10
	;; [unrolled: 5-line block ×6, first 2 shown]
	s_waitcnt vmcnt(0)
	v_mul_f16_sdwa v9, v63, v54 dst_sel:DWORD dst_unused:UNUSED_PAD src0_sel:DWORD src1_sel:WORD_1
	v_fma_f16 v77, v19, v54, -v9
	v_mul_f16_sdwa v9, v19, v54 dst_sel:DWORD dst_unused:UNUSED_PAD src0_sel:DWORD src1_sel:WORD_1
	v_sub_f16_e32 v10, v12, v64
	v_fma_f16 v78, v63, v54, v9
	v_sub_f16_e32 v62, v20, v22
	v_fma_f16 v9, v12, 2.0, -v10
	v_sub_f16_e32 v12, v13, v33
	v_sub_f16_e32 v64, v57, v58
	v_sub_f16_e32 v14, v16, v65
	v_fma_f16 v61, v20, 2.0, -v62
	v_fma_f16 v11, v13, 2.0, -v12
	;; [unrolled: 1-line block ×4, first 2 shown]
	v_sub_f16_e32 v16, v17, v68
	v_sub_f16_e32 v18, v55, v72
	;; [unrolled: 1-line block ×3, first 2 shown]
	v_fma_f16 v15, v17, 2.0, -v16
	v_fma_f16 v17, v55, 2.0, -v18
	v_sub_f16_e32 v20, v56, v75
	v_lshl_add_u32 v55, v23, 2, v26
	v_pack_b32_f16 v33, v9, v61
	v_pack_b32_f16 v57, v11, v63
	v_fma_f16 v66, v59, 2.0, -v65
	v_fma_f16 v19, v56, 2.0, -v20
	v_pack_b32_f16 v56, v10, v62
	ds_write2_b32 v55, v33, v57 offset1:34
	v_pack_b32_f16 v33, v12, v64
	v_add_u32_e32 v57, 0x200, v55
	v_sub_f16_e32 v68, v67, v69
	ds_write2_b32 v57, v56, v33 offset0:110 offset1:144
	v_lshlrev_b32_e32 v33, 2, v23
	v_pack_b32_f16 v56, v13, v66
	v_fma_f16 v67, v67, 2.0, -v68
	ds_write_b32 v55, v56 offset:272
	v_add_u32_e32 v56, v33, v26
	v_pack_b32_f16 v57, v14, v65
	v_sub_f16_e32 v69, v70, v73
	ds_write_b32 v56, v57 offset:1224
	v_pack_b32_f16 v57, v15, v67
	v_fma_f16 v70, v70, 2.0, -v69
	ds_write_b32 v55, v57 offset:408
	v_pack_b32_f16 v57, v16, v68
	v_sub_f16_e32 v72, v71, v76
	ds_write_b32 v56, v57 offset:1360
	v_pack_b32_f16 v57, v17, v70
	v_fma_f16 v71, v71, 2.0, -v72
	ds_write_b32 v55, v57 offset:544
	v_pack_b32_f16 v57, v18, v69
	v_sub_f16_e32 v22, v21, v77
	v_sub_f16_e32 v73, v74, v78
	ds_write_b32 v56, v57 offset:1496
	v_pack_b32_f16 v57, v19, v71
	v_fma_f16 v21, v21, 2.0, -v22
	v_fma_f16 v74, v74, 2.0, -v73
	ds_write_b32 v55, v57 offset:680
	v_pack_b32_f16 v57, v20, v72
	ds_write_b32 v56, v57 offset:1632
	v_pack_b32_f16 v57, v21, v74
	;; [unrolled: 2-line block ×3, first 2 shown]
	ds_write_b32 v56, v57 offset:1768
	s_waitcnt lgkmcnt(0)
	s_barrier
	s_and_saveexec_b64 s[0:1], vcc
	s_cbranch_execz .LBB0_9
; %bb.8:
	global_load_dword v81, v24, s[6:7] offset:1904
	s_add_u32 s2, s6, 0x770
	s_addc_u32 s3, s7, 0
	global_load_dword v82, v24, s[2:3] offset:112
	global_load_dword v83, v24, s[2:3] offset:224
	global_load_dword v84, v24, s[2:3] offset:336
	global_load_dword v85, v24, s[2:3] offset:448
	global_load_dword v86, v24, s[2:3] offset:560
	global_load_dword v87, v24, s[2:3] offset:672
	global_load_dword v88, v24, s[2:3] offset:784
	global_load_dword v89, v24, s[2:3] offset:896
	global_load_dword v90, v24, s[2:3] offset:1008
	global_load_dword v91, v24, s[2:3] offset:1120
	ds_read2_b32 v[57:58], v55 offset1:28
	ds_read2_b32 v[59:60], v55 offset0:56 offset1:84
	ds_read2_b32 v[75:76], v55 offset0:112 offset1:140
	;; [unrolled: 1-line block ×4, first 2 shown]
	global_load_dword v92, v24, s[2:3] offset:1232
	global_load_dword v94, v24, s[2:3] offset:1344
	;; [unrolled: 1-line block ×6, first 2 shown]
	s_waitcnt lgkmcnt(4)
	v_lshrrev_b32_e32 v99, 16, v57
	v_lshrrev_b32_e32 v100, 16, v58
	s_waitcnt lgkmcnt(3)
	v_lshrrev_b32_e32 v101, 16, v59
	v_lshrrev_b32_e32 v102, 16, v60
	;; [unrolled: 3-line block ×4, first 2 shown]
	v_add_u32_e32 v93, 0x400, v55
	s_waitcnt lgkmcnt(0)
	v_lshrrev_b32_e32 v107, 16, v79
	v_lshrrev_b32_e32 v108, 16, v80
	s_waitcnt vmcnt(13)
	v_mul_f16_sdwa v111, v102, v84 dst_sel:DWORD dst_unused:UNUSED_PAD src0_sel:DWORD src1_sel:WORD_1
	v_mul_f16_sdwa v112, v60, v84 dst_sel:DWORD dst_unused:UNUSED_PAD src0_sel:DWORD src1_sel:WORD_1
	s_waitcnt vmcnt(12)
	v_mul_f16_sdwa v113, v103, v85 dst_sel:DWORD dst_unused:UNUSED_PAD src0_sel:DWORD src1_sel:WORD_1
	v_mul_f16_sdwa v114, v75, v85 dst_sel:DWORD dst_unused:UNUSED_PAD src0_sel:DWORD src1_sel:WORD_1
	v_mul_f16_sdwa v109, v99, v81 dst_sel:DWORD dst_unused:UNUSED_PAD src0_sel:DWORD src1_sel:WORD_1
	v_mul_f16_sdwa v110, v57, v81 dst_sel:DWORD dst_unused:UNUSED_PAD src0_sel:DWORD src1_sel:WORD_1
	v_fma_f16 v57, v57, v81, -v109
	v_fma_f16 v81, v99, v81, v110
	v_pack_b32_f16 v57, v57, v81
	v_mul_f16_sdwa v81, v100, v82 dst_sel:DWORD dst_unused:UNUSED_PAD src0_sel:DWORD src1_sel:WORD_1
	v_mul_f16_sdwa v99, v58, v82 dst_sel:DWORD dst_unused:UNUSED_PAD src0_sel:DWORD src1_sel:WORD_1
	;; [unrolled: 1-line block ×4, first 2 shown]
	s_waitcnt vmcnt(11)
	v_mul_f16_sdwa v115, v104, v86 dst_sel:DWORD dst_unused:UNUSED_PAD src0_sel:DWORD src1_sel:WORD_1
	v_mul_f16_sdwa v116, v76, v86 dst_sel:DWORD dst_unused:UNUSED_PAD src0_sel:DWORD src1_sel:WORD_1
	s_waitcnt vmcnt(10)
	v_mul_f16_sdwa v117, v105, v87 dst_sel:DWORD dst_unused:UNUSED_PAD src0_sel:DWORD src1_sel:WORD_1
	v_mul_f16_sdwa v118, v77, v87 dst_sel:DWORD dst_unused:UNUSED_PAD src0_sel:DWORD src1_sel:WORD_1
	;; [unrolled: 3-line block ×3, first 2 shown]
	v_fma_f16 v58, v58, v82, -v81
	v_fma_f16 v81, v100, v82, v99
	v_fma_f16 v59, v59, v83, -v109
	v_fma_f16 v82, v101, v83, v110
	;; [unrolled: 2-line block ×7, first 2 shown]
	v_pack_b32_f16 v58, v58, v81
	v_pack_b32_f16 v59, v59, v82
	;; [unrolled: 1-line block ×7, first 2 shown]
	ds_write2_b32 v55, v57, v58 offset1:28
	ds_write2_b32 v55, v59, v60 offset0:56 offset1:84
	ds_write2_b32 v55, v75, v76 offset0:112 offset1:140
	;; [unrolled: 1-line block ×3, first 2 shown]
	ds_read2_b32 v[57:58], v93 offset0:24 offset1:52
	s_waitcnt vmcnt(8)
	v_mul_f16_sdwa v121, v107, v89 dst_sel:DWORD dst_unused:UNUSED_PAD src0_sel:DWORD src1_sel:WORD_1
	v_mul_f16_sdwa v122, v79, v89 dst_sel:DWORD dst_unused:UNUSED_PAD src0_sel:DWORD src1_sel:WORD_1
	s_waitcnt vmcnt(7)
	v_mul_f16_sdwa v123, v108, v90 dst_sel:DWORD dst_unused:UNUSED_PAD src0_sel:DWORD src1_sel:WORD_1
	v_mul_f16_sdwa v59, v80, v90 dst_sel:DWORD dst_unused:UNUSED_PAD src0_sel:DWORD src1_sel:WORD_1
	v_fma_f16 v79, v79, v89, -v121
	v_fma_f16 v88, v107, v89, v122
	v_fma_f16 v89, v80, v90, -v123
	v_fma_f16 v59, v108, v90, v59
	v_pack_b32_f16 v79, v79, v88
	v_pack_b32_f16 v59, v89, v59
	ds_write2_b32 v55, v79, v59 offset0:224 offset1:252
	s_waitcnt lgkmcnt(1)
	v_lshrrev_b32_e32 v59, 16, v57
	s_waitcnt vmcnt(6)
	v_mul_f16_sdwa v60, v59, v91 dst_sel:DWORD dst_unused:UNUSED_PAD src0_sel:DWORD src1_sel:WORD_1
	v_fma_f16 v60, v57, v91, -v60
	v_mul_f16_sdwa v57, v57, v91 dst_sel:DWORD dst_unused:UNUSED_PAD src0_sel:DWORD src1_sel:WORD_1
	v_lshrrev_b32_e32 v75, 16, v58
	v_fma_f16 v57, v59, v91, v57
	s_waitcnt vmcnt(5)
	v_mul_f16_sdwa v59, v75, v92 dst_sel:DWORD dst_unused:UNUSED_PAD src0_sel:DWORD src1_sel:WORD_1
	v_pack_b32_f16 v57, v60, v57
	v_fma_f16 v76, v58, v92, -v59
	ds_read2_b32 v[59:60], v93 offset0:80 offset1:108
	v_mul_f16_sdwa v58, v58, v92 dst_sel:DWORD dst_unused:UNUSED_PAD src0_sel:DWORD src1_sel:WORD_1
	v_fma_f16 v58, v75, v92, v58
	v_pack_b32_f16 v58, v76, v58
	ds_write2_b32 v93, v57, v58 offset0:24 offset1:52
	s_waitcnt lgkmcnt(1)
	v_lshrrev_b32_e32 v57, 16, v59
	s_waitcnt vmcnt(4)
	v_mul_f16_sdwa v58, v57, v94 dst_sel:DWORD dst_unused:UNUSED_PAD src0_sel:DWORD src1_sel:WORD_1
	v_fma_f16 v58, v59, v94, -v58
	v_mul_f16_sdwa v59, v59, v94 dst_sel:DWORD dst_unused:UNUSED_PAD src0_sel:DWORD src1_sel:WORD_1
	v_fma_f16 v57, v57, v94, v59
	v_lshrrev_b32_e32 v75, 16, v60
	v_pack_b32_f16 v59, v58, v57
	s_waitcnt vmcnt(3)
	v_mul_f16_sdwa v57, v75, v95 dst_sel:DWORD dst_unused:UNUSED_PAD src0_sel:DWORD src1_sel:WORD_1
	v_fma_f16 v76, v60, v95, -v57
	ds_read2_b32 v[57:58], v93 offset0:136 offset1:164
	v_mul_f16_sdwa v60, v60, v95 dst_sel:DWORD dst_unused:UNUSED_PAD src0_sel:DWORD src1_sel:WORD_1
	v_fma_f16 v60, v75, v95, v60
	v_pack_b32_f16 v60, v76, v60
	ds_write2_b32 v93, v59, v60 offset0:80 offset1:108
	s_waitcnt lgkmcnt(1)
	v_lshrrev_b32_e32 v59, 16, v57
	s_waitcnt vmcnt(2)
	v_mul_f16_sdwa v60, v59, v96 dst_sel:DWORD dst_unused:UNUSED_PAD src0_sel:DWORD src1_sel:WORD_1
	v_fma_f16 v60, v57, v96, -v60
	v_mul_f16_sdwa v57, v57, v96 dst_sel:DWORD dst_unused:UNUSED_PAD src0_sel:DWORD src1_sel:WORD_1
	v_fma_f16 v57, v59, v96, v57
	v_lshrrev_b32_e32 v59, 16, v58
	ds_read_b32 v75, v55 offset:1792
	v_pack_b32_f16 v57, v60, v57
	s_waitcnt vmcnt(1)
	v_mul_f16_sdwa v60, v59, v97 dst_sel:DWORD dst_unused:UNUSED_PAD src0_sel:DWORD src1_sel:WORD_1
	v_fma_f16 v60, v58, v97, -v60
	v_mul_f16_sdwa v58, v58, v97 dst_sel:DWORD dst_unused:UNUSED_PAD src0_sel:DWORD src1_sel:WORD_1
	v_fma_f16 v58, v59, v97, v58
	v_pack_b32_f16 v58, v60, v58
	ds_write2_b32 v93, v57, v58 offset0:136 offset1:164
	s_waitcnt lgkmcnt(1)
	v_lshrrev_b32_e32 v57, 16, v75
	s_waitcnt vmcnt(0)
	v_mul_f16_sdwa v58, v57, v98 dst_sel:DWORD dst_unused:UNUSED_PAD src0_sel:DWORD src1_sel:WORD_1
	v_mul_f16_sdwa v59, v75, v98 dst_sel:DWORD dst_unused:UNUSED_PAD src0_sel:DWORD src1_sel:WORD_1
	v_fma_f16 v58, v75, v98, -v58
	v_fma_f16 v57, v57, v98, v59
	v_pack_b32_f16 v57, v58, v57
	ds_write_b32 v55, v57 offset:1792
.LBB0_9:
	s_or_b64 exec, exec, s[0:1]
	s_waitcnt lgkmcnt(0)
	s_barrier
	s_and_saveexec_b64 s[0:1], vcc
	s_cbranch_execz .LBB0_11
; %bb.10:
	v_add_u32_e32 v5, 0x400, v55
	ds_read2_b32 v[9:10], v55 offset1:28
	ds_read2_b32 v[11:12], v55 offset0:56 offset1:84
	ds_read2_b32 v[13:14], v55 offset0:112 offset1:140
	;; [unrolled: 1-line block ×7, first 2 shown]
	ds_read_b32 v28, v55 offset:1792
	s_waitcnt lgkmcnt(8)
	v_lshrrev_b32_e32 v61, 16, v9
	v_lshrrev_b32_e32 v62, 16, v10
	s_waitcnt lgkmcnt(7)
	v_lshrrev_b32_e32 v63, 16, v11
	v_lshrrev_b32_e32 v64, 16, v12
	s_waitcnt lgkmcnt(6)
	v_lshrrev_b32_e32 v66, 16, v13
	v_lshrrev_b32_e32 v65, 16, v14
	s_waitcnt lgkmcnt(5)
	v_lshrrev_b32_e32 v67, 16, v15
	v_lshrrev_b32_e32 v68, 16, v16
	s_waitcnt lgkmcnt(4)
	v_lshrrev_b32_e32 v70, 16, v17
	v_lshrrev_b32_e32 v69, 16, v18
	s_waitcnt lgkmcnt(3)
	v_lshrrev_b32_e32 v71, 16, v19
	v_lshrrev_b32_e32 v72, 16, v20
	s_waitcnt lgkmcnt(2)
	v_lshrrev_b32_e32 v74, 16, v21
	v_lshrrev_b32_e32 v73, 16, v22
	s_waitcnt lgkmcnt(1)
	v_lshrrev_b32_e32 v30, 16, v5
	v_lshrrev_b32_e32 v29, 16, v6
	s_waitcnt lgkmcnt(0)
	v_lshrrev_b32_e32 v31, 16, v28
.LBB0_11:
	s_or_b64 exec, exec, s[0:1]
	v_add_u32_e32 v60, 0x110, v56
	v_add_u32_e32 v59, 0x198, v56
	;; [unrolled: 1-line block ×5, first 2 shown]
	s_barrier
	s_and_saveexec_b64 s[0:1], vcc
	s_cbranch_execz .LBB0_13
; %bb.12:
	v_sub_f16_e32 v75, v10, v28
	v_mul_f16_e32 v110, 0xbbf7, v75
	v_add_f16_e32 v96, v31, v62
	s_movk_i32 s3, 0x2de8
	v_sub_f16_e32 v77, v11, v6
	v_fma_f16 v76, v96, s3, v110
	v_mul_f16_e32 v111, 0xb1e1, v77
	v_add_f16_e32 v98, v29, v63
	s_mov_b32 s2, 0xbbdd
	v_add_f16_e32 v76, v61, v76
	v_fma_f16 v78, v98, s2, v111
	v_add_f16_e32 v76, v78, v76
	v_sub_f16_e32 v78, v12, v5
	v_mul_f16_e32 v112, 0x3bb2, v78
	v_add_f16_e32 v99, v30, v64
	s_mov_b32 s5, 0xb461
	v_fma_f16 v79, v99, s5, v112
	v_add_f16_e32 v76, v79, v76
	v_sub_f16_e32 v79, v13, v22
	v_mul_f16_e32 v113, 0x35c8, v79
	v_add_f16_e32 v100, v73, v66
	s_movk_i32 s15, 0x3b76
	v_fma_f16 v80, v100, s15, v113
	v_add_f16_e32 v76, v80, v76
	v_sub_f16_e32 v80, v14, v21
	v_mul_f16_e32 v114, 0xbb29, v80
	v_add_f16_e32 v101, v74, v65
	s_movk_i32 s17, 0x3722
	v_fma_f16 v81, v101, s17, v114
	v_add_f16_e32 v76, v81, v76
	v_sub_f16_e32 v81, v15, v20
	v_mul_f16_e32 v115, 0xb836, v81
	v_add_f16_e32 v102, v72, v67
	s_mov_b32 s16, 0xbacd
	v_fma_f16 v82, v102, s16, v115
	v_add_f16_e32 v76, v82, v76
	v_sub_f16_e32 v82, v16, v19
	v_mul_f16_e32 v116, 0x3a62, v82
	v_add_f16_e32 v103, v71, v68
	s_mov_b32 s18, 0xb8d2
	v_fma_f16 v83, v103, s18, v116
	v_add_f16_e32 v76, v83, v76
	v_sub_f16_e32 v83, v17, v18
	v_mul_f16_e32 v117, 0x3964, v83
	v_add_f16_e32 v105, v69, v70
	s_movk_i32 s21, 0x39e9
	v_fma_f16 v84, v105, s21, v117
	v_sub_f16_e32 v106, v62, v31
	v_add_f16_e32 v76, v84, v76
	v_add_f16_e32 v84, v28, v10
	v_mul_f16_e32 v118, 0xbbf7, v106
	v_fma_f16 v85, v84, s3, -v118
	v_sub_f16_e32 v107, v63, v29
	v_add_f16_e32 v86, v9, v85
	v_add_f16_e32 v85, v6, v11
	v_mul_f16_e32 v119, 0xb1e1, v107
	v_fma_f16 v87, v85, s2, -v119
	;; [unrolled: 5-line block ×8, first 2 shown]
	v_mul_f16_e32 v130, 0xbbb2, v75
	v_fma_f16 v110, v96, s3, -v110
	v_add_f16_e32 v86, v93, v86
	v_fma_f16 v93, v96, s5, v130
	v_mul_f16_e32 v131, 0x3836, v77
	v_add_f16_e32 v110, v61, v110
	v_fma_f16 v111, v98, s2, -v111
	v_add_f16_e32 v93, v61, v93
	v_fma_f16 v94, v98, s16, v131
	v_mul_f16_e32 v132, 0x3964, v78
	v_add_f16_e32 v110, v111, v110
	;; [unrolled: 5-line block ×8, first 2 shown]
	v_fma_f16 v111, v84, s3, v118
	v_add_f16_e32 v93, v94, v93
	v_fma_f16 v94, v84, s5, -v138
	v_mul_f16_e32 v139, 0x3836, v107
	v_add_f16_e32 v111, v9, v111
	v_fma_f16 v112, v85, s2, v119
	v_add_f16_e32 v94, v9, v94
	v_fma_f16 v95, v85, s16, -v139
	v_mul_f16_e32 v140, 0x3964, v108
	v_add_f16_e32 v111, v112, v111
	;; [unrolled: 5-line block ×7, first 2 shown]
	v_fma_f16 v112, v92, s21, v129
	v_add_f16_e32 v94, v95, v94
	v_fma_f16 v95, v92, s18, -v145
	v_mul_f16_e32 v146, 0xba62, v75
	s_movk_i32 s31, 0x3b29
	v_add_f16_e32 v111, v112, v111
	v_mul_f16_e32 v112, 0x3722, v96
	s_movk_i32 s30, 0x3a62
	v_add_f16_e32 v94, v95, v94
	v_fma_f16 v95, v96, s18, v146
	v_mul_f16_e32 v147, 0x3bb2, v77
	v_fma_f16 v113, v75, s31, v112
	v_mul_f16_e32 v114, 0xb8d2, v98
	v_add_f16_e32 v95, v61, v95
	v_fma_f16 v97, v98, s5, v147
	v_mul_f16_e32 v148, 0xb5c8, v78
	v_add_f16_e32 v113, v61, v113
	v_fma_f16 v115, v77, s30, v114
	s_mov_b32 s4, 0xb1e1
	v_add_f16_e32 v95, v97, v95
	v_fma_f16 v97, v99, s15, v148
	v_mul_f16_e32 v149, 0xb836, v79
	v_add_f16_e32 v113, v115, v113
	v_mul_f16_e32 v115, 0xbbdd, v99
	v_add_f16_e32 v95, v97, v95
	v_fma_f16 v97, v100, s16, v149
	v_mul_f16_e32 v150, 0x3bf7, v80
	v_fma_f16 v116, v78, s4, v115
	s_mov_b32 s24, 0xbbb2
	v_add_f16_e32 v95, v97, v95
	v_fma_f16 v97, v101, s3, v150
	v_mul_f16_e32 v151, 0xb964, v81
	v_fma_f16 v130, v96, s5, -v130
	v_add_f16_e32 v113, v116, v113
	v_mul_f16_e32 v116, 0xb461, v100
	v_add_f16_e32 v95, v97, v95
	v_fma_f16 v97, v102, s21, v151
	v_mul_f16_e32 v152, 0xb1e1, v82
	v_add_f16_e32 v130, v61, v130
	v_fma_f16 v131, v98, s16, -v131
	v_fma_f16 v117, v79, s24, v116
	s_mov_b32 s29, 0xb964
	v_add_f16_e32 v95, v97, v95
	v_fma_f16 v97, v103, s2, v152
	v_mul_f16_e32 v153, 0x3b29, v83
	v_add_f16_e32 v130, v131, v130
	v_fma_f16 v131, v99, s21, -v132
	v_add_f16_e32 v113, v117, v113
	v_mul_f16_e32 v117, 0x39e9, v101
	v_add_f16_e32 v95, v97, v95
	v_fma_f16 v97, v105, s17, v153
	v_mul_f16_e32 v154, 0xba62, v106
	v_add_f16_e32 v130, v131, v130
	v_fma_f16 v131, v100, s17, -v133
	v_fma_f16 v118, v80, s29, v117
	s_movk_i32 s23, 0x35c8
	v_add_f16_e32 v95, v97, v95
	v_fma_f16 v97, v84, s18, -v154
	v_mul_f16_e32 v155, 0x3bb2, v107
	v_add_f16_e32 v130, v131, v130
	v_fma_f16 v131, v101, s2, -v134
	v_add_f16_e32 v113, v118, v113
	v_mul_f16_e32 v118, 0x3b76, v102
	v_add_f16_e32 v97, v9, v97
	v_fma_f16 v104, v85, s5, -v155
	v_mul_f16_e32 v156, 0xb5c8, v108
	v_add_f16_e32 v130, v131, v130
	v_fma_f16 v131, v102, s3, -v135
	v_fma_f16 v119, v81, s23, v118
	s_movk_i32 s33, 0x3bf7
	v_add_f16_e32 v97, v104, v97
	v_fma_f16 v104, v87, s15, -v156
	v_mul_f16_e32 v157, 0xb836, v109
	v_add_f16_e32 v130, v131, v130
	v_fma_f16 v131, v103, s15, -v136
	v_add_f16_e32 v113, v119, v113
	v_mul_f16_e32 v119, 0x2de8, v103
	v_add_f16_e32 v97, v104, v97
	v_fma_f16 v104, v88, s16, -v157
	v_mul_f16_e32 v158, 0x3bf7, v122
	v_add_f16_e32 v130, v131, v130
	v_fma_f16 v131, v105, s18, -v137
	v_fma_f16 v120, v82, s33, v119
	s_movk_i32 s28, 0x3836
	v_add_f16_e32 v97, v104, v97
	v_fma_f16 v104, v89, s3, -v158
	v_mul_f16_e32 v159, 0xb964, v124
	v_add_f16_e32 v130, v131, v130
	v_fma_f16 v131, v84, s5, v138
	v_add_f16_e32 v113, v120, v113
	v_mul_f16_e32 v120, 0xbacd, v105
	v_add_f16_e32 v97, v104, v97
	v_fma_f16 v104, v90, s21, -v159
	v_mul_f16_e32 v160, 0xb1e1, v126
	v_add_f16_e32 v131, v9, v131
	v_fma_f16 v132, v85, s16, v139
	v_fma_f16 v121, v83, s28, v120
	v_add_f16_e32 v97, v104, v97
	v_fma_f16 v104, v91, s2, -v160
	v_mul_f16_e32 v161, 0x3b29, v128
	v_add_f16_e32 v131, v132, v131
	v_fma_f16 v132, v87, s21, v140
	v_add_f16_e32 v113, v121, v113
	v_mul_f16_e32 v121, 0xbb29, v106
	v_add_f16_e32 v97, v104, v97
	v_fma_f16 v104, v92, s17, -v161
	v_mul_f16_e32 v162, 0xb836, v75
	v_add_f16_e32 v131, v132, v131
	v_fma_f16 v132, v88, s17, v141
	v_fma_f16 v123, v84, s17, v121
	v_mul_f16_e32 v125, 0xba62, v107
	v_add_f16_e32 v10, v10, v9
	v_add_f16_e32 v97, v104, v97
	v_fma_f16 v104, v96, s16, v162
	v_mul_f16_e32 v163, 0x3b29, v77
	v_add_f16_e32 v131, v132, v131
	v_fma_f16 v132, v89, s2, v142
	v_add_f16_e32 v123, v9, v123
	v_fma_f16 v127, v85, s18, v125
	v_add_f16_e32 v10, v11, v10
	v_add_f16_e32 v104, v61, v104
	v_fma_f16 v164, v98, s17, v163
	v_add_f16_e32 v131, v132, v131
	v_fma_f16 v132, v90, s3, v143
	v_add_f16_e32 v123, v127, v123
	v_mul_f16_e32 v127, 0x31e1, v108
	v_add_f16_e32 v10, v12, v10
	v_add_f16_e32 v104, v164, v104
	v_mul_f16_e32 v164, 0xbbf7, v78
	v_add_f16_e32 v131, v132, v131
	v_fma_f16 v132, v91, s15, v144
	v_fma_f16 v129, v87, s2, v127
	v_add_f16_e32 v10, v13, v10
	v_fma_f16 v165, v99, s3, v164
	v_add_f16_e32 v131, v132, v131
	v_fma_f16 v132, v92, s18, v145
	v_add_f16_e32 v123, v129, v123
	v_mul_f16_e32 v129, 0x3bb2, v109
	v_add_f16_e32 v10, v14, v10
	v_add_f16_e32 v104, v165, v104
	v_mul_f16_e32 v165, 0x3a62, v79
	v_add_f16_e32 v131, v132, v131
	v_fma_f16 v132, v88, s5, v129
	v_add_f16_e32 v10, v15, v10
	v_fma_f16 v166, v100, s18, v165
	v_add_f16_e32 v123, v132, v123
	v_mul_f16_e32 v132, 0x3964, v122
	v_add_f16_e32 v10, v16, v10
	v_add_f16_e32 v104, v166, v104
	v_mul_f16_e32 v166, 0xb5c8, v80
	v_fma_f16 v133, v89, s21, v132
	v_add_f16_e32 v10, v17, v10
	v_fma_f16 v167, v101, s15, v166
	v_add_f16_e32 v123, v133, v123
	v_mul_f16_e32 v133, 0xb5c8, v124
	v_add_f16_e32 v10, v18, v10
	v_add_f16_e32 v104, v167, v104
	v_mul_f16_e32 v167, 0xb1e1, v81
	;; [unrolled: 8-line block ×3, first 2 shown]
	v_fma_f16 v135, v91, s3, v134
	v_add_f16_e32 v10, v21, v10
	s_mov_b32 s20, 0xbb29
	v_fma_f16 v169, v103, s21, v168
	v_add_f16_e32 v123, v135, v123
	v_mul_f16_e32 v135, 0xb836, v128
	v_add_f16_e32 v10, v22, v10
	s_mov_b32 s26, 0xba62
	v_add_f16_e32 v104, v169, v104
	v_mul_f16_e32 v169, 0xbbb2, v83
	v_fma_f16 v136, v92, s16, v135
	v_add_f16_e32 v5, v5, v10
	v_fma_f16 v10, v75, s20, v112
	s_movk_i32 s25, 0x3964
	v_fma_f16 v170, v105, s5, v169
	v_fma_f16 v146, v96, s18, -v146
	s_movk_i32 s34, 0x31e1
	v_add_f16_e32 v123, v136, v123
	v_mul_f16_e32 v136, 0x39e9, v96
	v_add_f16_e32 v10, v61, v10
	v_fma_f16 v11, v77, s26, v114
	s_movk_i32 s22, 0x3bb2
	v_add_f16_e32 v104, v170, v104
	v_mul_f16_e32 v170, 0xb836, v106
	v_add_f16_e32 v146, v61, v146
	v_fma_f16 v147, v98, s5, -v147
	v_fma_f16 v137, v75, s25, v136
	v_mul_f16_e32 v138, 0x2de8, v98
	v_add_f16_e32 v10, v11, v10
	v_fma_f16 v11, v78, s34, v115
	v_fma_f16 v171, v84, s16, -v170
	v_mul_f16_e32 v172, 0x3b29, v107
	v_add_f16_e32 v146, v147, v146
	v_fma_f16 v147, v99, s15, -v148
	v_add_f16_e32 v137, v61, v137
	v_fma_f16 v139, v77, s33, v138
	v_add_f16_e32 v10, v11, v10
	v_fma_f16 v11, v79, s22, v116
	s_mov_b32 s27, 0xb5c8
	v_add_f16_e32 v171, v9, v171
	v_fma_f16 v173, v85, s17, -v172
	v_add_f16_e32 v146, v147, v146
	v_fma_f16 v147, v100, s16, -v149
	v_add_f16_e32 v137, v139, v137
	v_mul_f16_e32 v139, 0xb8d2, v99
	v_add_f16_e32 v10, v11, v10
	v_fma_f16 v11, v80, s25, v117
	s_mov_b32 s14, 0xbbf7
	v_add_f16_e32 v171, v173, v171
	v_mul_f16_e32 v173, 0xbbf7, v108
	v_add_f16_e32 v146, v147, v146
	v_fma_f16 v147, v101, s3, -v150
	v_fma_f16 v140, v78, s30, v139
	v_add_f16_e32 v10, v11, v10
	v_fma_f16 v11, v81, s27, v118
	s_mov_b32 s19, 0xb836
	v_fma_f16 v174, v87, s3, -v173
	v_add_f16_e32 v146, v147, v146
	v_fma_f16 v147, v102, s21, -v151
	v_add_f16_e32 v137, v140, v137
	v_mul_f16_e32 v140, 0xbbdd, v100
	v_add_f16_e32 v10, v11, v10
	v_fma_f16 v11, v82, s14, v119
	v_add_f16_e32 v171, v174, v171
	v_mul_f16_e32 v174, 0x3a62, v109
	v_add_f16_e32 v146, v147, v146
	v_fma_f16 v147, v103, s2, -v152
	v_fma_f16 v141, v79, s34, v140
	v_add_f16_e32 v10, v11, v10
	v_fma_f16 v11, v83, s19, v120
	v_fma_f16 v175, v88, s18, -v174
	v_add_f16_e32 v146, v147, v146
	v_fma_f16 v147, v105, s17, -v153
	v_add_f16_e32 v137, v141, v137
	v_mul_f16_e32 v141, 0xbacd, v101
	v_add_f16_e32 v10, v11, v10
	v_fma_f16 v11, v84, s17, -v121
	v_add_f16_e32 v171, v175, v171
	v_mul_f16_e32 v175, 0xb5c8, v122
	v_add_f16_e32 v146, v147, v146
	v_fma_f16 v147, v84, s18, v154
	v_fma_f16 v142, v80, s19, v141
	v_add_f16_e32 v11, v9, v11
	v_fma_f16 v12, v85, s18, -v125
	v_fma_f16 v176, v89, s15, -v175
	v_add_f16_e32 v147, v9, v147
	v_fma_f16 v148, v85, s5, v155
	v_add_f16_e32 v137, v142, v137
	v_mul_f16_e32 v142, 0xb461, v102
	v_add_f16_e32 v11, v12, v11
	v_fma_f16 v12, v87, s2, -v127
	v_add_f16_e32 v171, v176, v171
	v_mul_f16_e32 v176, 0xb1e1, v124
	v_add_f16_e32 v147, v148, v147
	v_fma_f16 v148, v87, s15, v156
	v_fma_f16 v143, v81, s24, v142
	v_add_f16_e32 v11, v12, v11
	v_fma_f16 v12, v88, s5, -v129
	v_fma_f16 v177, v90, s2, -v176
	v_add_f16_e32 v147, v148, v147
	v_fma_f16 v148, v88, s16, v157
	;; [unrolled: 14-line block ×4, first 2 shown]
	v_add_f16_e32 v137, v145, v137
	v_mul_f16_e32 v145, 0xb964, v106
	v_add_f16_e32 v11, v12, v11
	v_fma_f16 v12, v75, s29, v136
	v_add_f16_e32 v171, v179, v171
	v_mul_f16_e32 v179, 0xb1e1, v75
	v_add_f16_e32 v147, v148, v147
	v_fma_f16 v148, v84, s21, v145
	v_mul_f16_e32 v149, 0xbbf7, v107
	v_add_f16_e32 v12, v61, v12
	v_fma_f16 v13, v77, s14, v138
	v_fma_f16 v180, v96, s2, v179
	v_mul_f16_e32 v181, 0x35c8, v77
	v_add_f16_e32 v148, v9, v148
	v_fma_f16 v150, v85, s3, v149
	v_add_f16_e32 v12, v13, v12
	v_fma_f16 v13, v78, s26, v139
	;; [unrolled: 2-line block ×3, first 2 shown]
	v_add_f16_e32 v148, v150, v148
	v_mul_f16_e32 v150, 0xba62, v108
	v_add_f16_e32 v12, v13, v12
	v_fma_f16 v13, v79, s4, v140
	v_add_f16_e32 v180, v182, v180
	v_mul_f16_e32 v182, 0xb836, v78
	v_fma_f16 v151, v87, s18, v150
	v_add_f16_e32 v12, v13, v12
	v_fma_f16 v13, v80, s28, v141
	v_fma_f16 v183, v99, s16, v182
	v_add_f16_e32 v148, v151, v148
	v_mul_f16_e32 v151, 0xb1e1, v109
	v_add_f16_e32 v12, v13, v12
	v_fma_f16 v13, v81, s22, v142
	v_add_f16_e32 v180, v183, v180
	v_mul_f16_e32 v183, 0x3964, v79
	v_fma_f16 v152, v88, s2, v151
	v_add_f16_e32 v12, v13, v12
	v_fma_f16 v13, v82, s31, v143
	v_fma_f16 v184, v100, s21, v183
	v_add_f16_e32 v148, v152, v148
	v_mul_f16_e32 v152, 0x3836, v122
	v_add_f16_e32 v12, v13, v12
	v_fma_f16 v13, v83, s23, v144
	v_add_f16_e32 v180, v184, v180
	v_mul_f16_e32 v184, 0xba62, v80
	v_fma_f16 v153, v89, s16, v152
	v_add_f16_e32 v12, v13, v12
	v_fma_f16 v13, v84, s21, -v145
	v_fma_f16 v185, v101, s18, v184
	v_add_f16_e32 v148, v153, v148
	v_mul_f16_e32 v153, 0x3bb2, v124
	v_add_f16_e32 v13, v9, v13
	v_fma_f16 v14, v85, s3, -v149
	v_add_f16_e32 v180, v185, v180
	v_mul_f16_e32 v185, 0x3b29, v81
	v_fma_f16 v154, v90, s5, v153
	v_add_f16_e32 v13, v14, v13
	v_fma_f16 v14, v87, s18, -v150
	v_fma_f16 v186, v102, s17, v185
	v_add_f16_e32 v148, v154, v148
	v_mul_f16_e32 v154, 0x3b29, v126
	v_add_f16_e32 v13, v14, v13
	v_fma_f16 v14, v88, s2, -v151
	;; [unrolled: 10-line block ×3, first 2 shown]
	v_add_f16_e32 v180, v187, v180
	v_mul_f16_e32 v187, 0x3bf7, v83
	v_fma_f16 v179, v96, s2, -v179
	v_fma_f16 v162, v96, s16, -v162
	v_fma_f16 v156, v92, s15, v155
	v_mul_f16_e32 v96, 0x3b76, v96
	v_add_f16_e32 v13, v14, v13
	v_fma_f16 v14, v91, s17, -v154
	v_fma_f16 v188, v105, s3, v187
	v_add_f16_e32 v179, v61, v179
	v_fma_f16 v181, v98, s15, -v181
	v_add_f16_e32 v162, v61, v162
	v_fma_f16 v163, v98, s17, -v163
	v_add_f16_e32 v148, v156, v148
	v_fma_f16 v156, v75, s23, v96
	v_mul_f16_e32 v98, 0x39e9, v98
	v_add_f16_e32 v13, v14, v13
	v_fma_f16 v14, v92, s15, -v155
	v_add_f16_e32 v180, v188, v180
	v_mul_f16_e32 v188, 0xb1e1, v106
	v_add_f16_e32 v179, v181, v179
	v_fma_f16 v181, v99, s16, -v182
	v_add_f16_e32 v162, v163, v162
	v_fma_f16 v163, v99, s3, -v164
	v_add_f16_e32 v156, v61, v156
	v_fma_f16 v157, v77, s25, v98
	v_mul_f16_e32 v99, 0x3722, v99
	v_add_f16_e32 v5, v6, v5
	v_add_f16_e32 v6, v62, v61
	;; [unrolled: 1-line block ×3, first 2 shown]
	v_fma_f16 v14, v75, s27, v96
	v_fma_f16 v189, v84, s2, -v188
	v_mul_f16_e32 v190, 0x35c8, v107
	v_add_f16_e32 v179, v181, v179
	v_fma_f16 v181, v100, s21, -v183
	v_add_f16_e32 v162, v163, v162
	v_fma_f16 v163, v100, s18, -v165
	v_add_f16_e32 v156, v157, v156
	v_fma_f16 v157, v78, s31, v99
	v_mul_f16_e32 v100, 0x2de8, v100
	v_add_f16_e32 v6, v63, v6
	v_add_f16_e32 v14, v61, v14
	v_fma_f16 v15, v77, s29, v98
	v_add_f16_e32 v189, v9, v189
	v_fma_f16 v191, v85, s15, -v190
	v_add_f16_e32 v179, v181, v179
	v_fma_f16 v181, v101, s18, -v184
	;; [unrolled: 2-line block ×3, first 2 shown]
	v_add_f16_e32 v156, v157, v156
	v_fma_f16 v157, v79, s33, v100
	v_mul_f16_e32 v101, 0xb461, v101
	v_add_f16_e32 v6, v64, v6
	v_add_f16_e32 v14, v15, v14
	v_fma_f16 v15, v78, s20, v99
	v_add_f16_e32 v189, v191, v189
	v_mul_f16_e32 v191, 0xb836, v108
	v_add_f16_e32 v179, v181, v179
	v_fma_f16 v181, v102, s17, -v185
	v_add_f16_e32 v162, v163, v162
	v_fma_f16 v163, v102, s2, -v167
	v_add_f16_e32 v156, v157, v156
	v_fma_f16 v157, v80, s22, v101
	v_mul_f16_e32 v102, 0xb8d2, v102
	v_add_f16_e32 v6, v66, v6
	v_add_f16_e32 v14, v15, v14
	v_fma_f16 v15, v79, s14, v100
	v_fma_f16 v192, v87, s16, -v191
	v_add_f16_e32 v179, v181, v179
	v_fma_f16 v181, v103, s5, -v186
	v_add_f16_e32 v162, v163, v162
	;; [unrolled: 2-line block ×3, first 2 shown]
	v_fma_f16 v157, v81, s30, v102
	v_mul_f16_e32 v103, 0xbacd, v103
	v_add_f16_e32 v6, v65, v6
	v_add_f16_e32 v14, v15, v14
	v_fma_f16 v15, v80, s24, v101
	v_add_f16_e32 v189, v192, v189
	v_mul_f16_e32 v192, 0x3964, v109
	v_add_f16_e32 v179, v181, v179
	v_fma_f16 v181, v105, s3, -v187
	v_add_f16_e32 v162, v163, v162
	v_fma_f16 v163, v105, s5, -v169
	v_add_f16_e32 v156, v157, v156
	v_fma_f16 v157, v82, s28, v103
	v_mul_f16_e32 v105, 0xbbdd, v105
	v_add_f16_e32 v6, v67, v6
	v_add_f16_e32 v14, v15, v14
	v_fma_f16 v15, v81, s26, v102
	v_fma_f16 v193, v88, s21, -v192
	v_add_f16_e32 v156, v157, v156
	v_fma_f16 v157, v83, s34, v105
	v_mul_f16_e32 v106, 0xb5c8, v106
	v_add_f16_e32 v6, v68, v6
	v_add_f16_e32 v14, v15, v14
	v_fma_f16 v15, v82, s19, v103
	v_add_f16_e32 v189, v193, v189
	v_mul_f16_e32 v193, 0xba62, v122
	v_add_f16_e32 v156, v157, v156
	v_fma_f16 v157, v84, s15, v106
	v_mul_f16_e32 v107, 0xb964, v107
	v_add_f16_e32 v6, v70, v6
	v_add_f16_e32 v14, v15, v14
	v_fma_f16 v15, v83, s4, v105
	v_fma_f16 v194, v89, s18, -v193
	v_add_f16_e32 v179, v181, v179
	v_fma_f16 v181, v84, s2, v188
	v_add_f16_e32 v162, v163, v162
	v_fma_f16 v163, v84, s16, v170
	;; [unrolled: 2-line block ×3, first 2 shown]
	v_mul_f16_e32 v108, 0xbb29, v108
	v_add_f16_e32 v6, v69, v6
	v_add_f16_e32 v14, v15, v14
	v_fma_f16 v15, v84, s15, -v106
	v_add_f16_e32 v189, v194, v189
	v_mul_f16_e32 v194, 0x3b29, v124
	v_add_f16_e32 v181, v9, v181
	v_add_f16_e32 v163, v9, v163
	;; [unrolled: 1-line block ×3, first 2 shown]
	v_fma_f16 v158, v87, s17, v108
	v_mul_f16_e32 v109, 0xbbf7, v109
	v_add_f16_e32 v6, v71, v6
	v_add_f16_e32 v9, v9, v15
	v_fma_f16 v15, v85, s21, -v107
	v_fma_f16 v195, v90, s17, -v194
	v_add_f16_e32 v157, v158, v157
	v_fma_f16 v158, v88, s3, v109
	v_mul_f16_e32 v122, 0xbbb2, v122
	v_add_f16_e32 v6, v72, v6
	v_add_f16_e32 v9, v15, v9
	v_fma_f16 v15, v87, s17, -v108
	v_add_f16_e32 v189, v195, v189
	v_mul_f16_e32 v195, 0xbbb2, v126
	v_fma_f16 v164, v85, s17, v172
	v_add_f16_e32 v157, v158, v157
	v_fma_f16 v158, v89, s5, v122
	v_mul_f16_e32 v124, 0xba62, v124
	v_add_f16_e32 v6, v74, v6
	v_add_f16_e32 v9, v15, v9
	v_fma_f16 v15, v88, s3, -v109
	v_fma_f16 v196, v91, s5, -v195
	v_fma_f16 v182, v85, s15, v190
	v_add_f16_e32 v163, v164, v163
	v_fma_f16 v164, v87, s3, v173
	v_add_f16_e32 v157, v158, v157
	v_fma_f16 v158, v90, s18, v124
	v_mul_f16_e32 v126, 0xb836, v126
	v_add_f16_e32 v6, v73, v6
	v_add_f16_e32 v9, v15, v9
	v_fma_f16 v15, v89, s5, -v122
	v_add_f16_e32 v189, v196, v189
	v_mul_f16_e32 v196, 0x3bf7, v128
	v_add_f16_e32 v181, v182, v181
	v_fma_f16 v182, v87, s16, v191
	v_add_f16_e32 v163, v164, v163
	v_fma_f16 v164, v88, s18, v174
	v_add_f16_e32 v157, v158, v157
	v_fma_f16 v158, v91, s16, v126
	v_mul_f16_e32 v128, 0xb1e1, v128
	v_add_f16_e32 v6, v30, v6
	v_add_f16_e32 v9, v15, v9
	v_fma_f16 v15, v90, s18, -v124
	v_add_f16_e32 v181, v182, v181
	v_fma_f16 v182, v88, s21, v192
	v_add_f16_e32 v163, v164, v163
	v_fma_f16 v164, v89, s15, v175
	;; [unrolled: 2-line block ×3, first 2 shown]
	v_add_f16_e32 v6, v29, v6
	v_add_f16_e32 v9, v15, v9
	v_fma_f16 v15, v91, s16, -v126
	v_add_f16_e32 v181, v182, v181
	v_fma_f16 v182, v89, s18, v193
	v_add_f16_e32 v163, v164, v163
	v_fma_f16 v164, v90, s2, v176
	v_add_f16_e32 v157, v158, v157
	v_add_f16_e32 v5, v28, v5
	;; [unrolled: 1-line block ×4, first 2 shown]
	v_fma_f16 v15, v92, s2, -v128
	v_add_f16_e32 v181, v182, v181
	v_fma_f16 v182, v90, s17, v194
	v_add_f16_e32 v163, v164, v163
	v_fma_f16 v164, v91, s21, v177
	v_add_f16_e32 v9, v15, v9
	v_lshl_add_u32 v15, v27, 2, v26
	v_pack_b32_f16 v16, v157, v156
	v_pack_b32_f16 v5, v5, v6
	v_add_f16_e32 v181, v182, v181
	v_fma_f16 v182, v91, s5, v195
	v_add_f16_e32 v163, v164, v163
	v_fma_f16 v164, v92, s5, v178
	ds_write2_b32 v15, v5, v16 offset1:1
	v_pack_b32_f16 v5, v123, v113
	v_pack_b32_f16 v6, v148, v137
	v_fma_f16 v197, v92, s3, -v196
	v_add_f16_e32 v181, v182, v181
	v_fma_f16 v182, v92, s3, v196
	v_add_f16_e32 v163, v164, v163
	ds_write2_b32 v15, v6, v5 offset0:2 offset1:3
	v_pack_b32_f16 v5, v131, v130
	v_pack_b32_f16 v6, v111, v110
	v_add_f16_e32 v189, v197, v189
	v_add_f16_e32 v181, v182, v181
	ds_write2_b32 v15, v6, v5 offset0:4 offset1:5
	v_pack_b32_f16 v5, v163, v162
	v_pack_b32_f16 v6, v147, v146
	ds_write2_b32 v15, v6, v5 offset0:6 offset1:7
	v_pack_b32_f16 v5, v189, v180
	v_pack_b32_f16 v6, v181, v179
	;; [unrolled: 3-line block ×5, first 2 shown]
	ds_write2_b32 v15, v6, v5 offset0:14 offset1:15
	v_pack_b32_f16 v5, v9, v14
	ds_write_b32 v15, v5 offset:64
.LBB0_13:
	s_or_b64 exec, exec, s[0:1]
	s_waitcnt lgkmcnt(0)
	s_barrier
	ds_read2_b32 v[5:6], v32 offset1:34
	ds_read2_b32 v[9:10], v32 offset0:204 offset1:238
	v_add_u32_e32 v21, 0x400, v32
	ds_read2_b32 v[11:12], v21 offset0:16 offset1:50
	ds_read2_b32 v[13:14], v32 offset0:68 offset1:102
	;; [unrolled: 1-line block ×5, first 2 shown]
	s_waitcnt lgkmcnt(5)
	v_lshrrev_b32_e32 v26, 16, v10
	v_mul_f16_sdwa v68, v34, v26 dst_sel:DWORD dst_unused:UNUSED_PAD src0_sel:WORD_1 src1_sel:DWORD
	s_waitcnt lgkmcnt(4)
	v_lshrrev_b32_e32 v28, 16, v11
	v_fma_f16 v68, v34, v10, v68
	v_mul_f16_sdwa v10, v34, v10 dst_sel:DWORD dst_unused:UNUSED_PAD src0_sel:WORD_1 src1_sel:DWORD
	v_fma_f16 v10, v34, v26, -v10
	v_mul_f16_sdwa v26, v35, v28 dst_sel:DWORD dst_unused:UNUSED_PAD src0_sel:WORD_1 src1_sel:DWORD
	v_lshrrev_b32_e32 v30, 16, v12
	v_fma_f16 v26, v35, v11, v26
	v_mul_f16_sdwa v11, v35, v11 dst_sel:DWORD dst_unused:UNUSED_PAD src0_sel:WORD_1 src1_sel:DWORD
	v_fma_f16 v11, v35, v28, -v11
	v_mul_f16_sdwa v28, v36, v30 dst_sel:DWORD dst_unused:UNUSED_PAD src0_sel:WORD_1 src1_sel:DWORD
	s_waitcnt lgkmcnt(2)
	v_lshrrev_b32_e32 v61, 16, v15
	v_fma_f16 v28, v36, v12, v28
	v_mul_f16_sdwa v12, v36, v12 dst_sel:DWORD dst_unused:UNUSED_PAD src0_sel:WORD_1 src1_sel:DWORD
	v_fma_f16 v12, v36, v30, -v12
	v_mul_f16_sdwa v30, v37, v61 dst_sel:DWORD dst_unused:UNUSED_PAD src0_sel:WORD_1 src1_sel:DWORD
	v_lshrrev_b32_e32 v22, 16, v5
	v_fma_f16 v30, v37, v15, v30
	v_mul_f16_sdwa v15, v37, v15 dst_sel:DWORD dst_unused:UNUSED_PAD src0_sel:WORD_1 src1_sel:DWORD
	v_lshrrev_b32_e32 v27, 16, v6
	v_lshrrev_b32_e32 v63, 16, v16
	v_fma_f16 v15, v37, v61, -v15
	v_sub_f16_e32 v37, v5, v68
	v_sub_f16_e32 v10, v22, v10
	v_lshrrev_b32_e32 v29, 16, v13
	s_waitcnt lgkmcnt(0)
	v_lshrrev_b32_e32 v65, 16, v19
	v_mul_f16_sdwa v34, v38, v63 dst_sel:DWORD dst_unused:UNUSED_PAD src0_sel:WORD_1 src1_sel:DWORD
	v_fma_f16 v5, v5, 2.0, -v37
	v_fma_f16 v22, v22, 2.0, -v10
	v_sub_f16_e32 v26, v6, v26
	v_sub_f16_e32 v11, v27, v11
	v_lshrrev_b32_e32 v31, 16, v14
	v_lshrrev_b32_e32 v67, 16, v20
	v_fma_f16 v34, v38, v16, v34
	v_mul_f16_sdwa v16, v38, v16 dst_sel:DWORD dst_unused:UNUSED_PAD src0_sel:WORD_1 src1_sel:DWORD
	v_mul_f16_sdwa v35, v39, v65 dst_sel:DWORD dst_unused:UNUSED_PAD src0_sel:WORD_1 src1_sel:DWORD
	v_fma_f16 v6, v6, 2.0, -v26
	v_fma_f16 v27, v27, 2.0, -v11
	v_sub_f16_e32 v28, v13, v28
	v_sub_f16_e32 v12, v29, v12
	v_pack_b32_f16 v5, v5, v22
	v_pack_b32_f16 v10, v37, v10
	v_lshrrev_b32_e32 v62, 16, v17
	v_fma_f16 v16, v38, v63, -v16
	v_fma_f16 v35, v39, v19, v35
	v_mul_f16_sdwa v19, v39, v19 dst_sel:DWORD dst_unused:UNUSED_PAD src0_sel:WORD_1 src1_sel:DWORD
	v_mul_f16_sdwa v36, v40, v67 dst_sel:DWORD dst_unused:UNUSED_PAD src0_sel:WORD_1 src1_sel:DWORD
	v_fma_f16 v13, v13, 2.0, -v28
	v_fma_f16 v29, v29, 2.0, -v12
	v_sub_f16_e32 v30, v14, v30
	v_sub_f16_e32 v15, v31, v15
	s_barrier
	ds_write2_b32 v41, v5, v10 offset1:17
	v_pack_b32_f16 v5, v6, v27
	v_pack_b32_f16 v6, v26, v11
	v_lshrrev_b32_e32 v64, 16, v18
	v_fma_f16 v19, v39, v65, -v19
	v_fma_f16 v36, v40, v20, v36
	v_mul_f16_sdwa v20, v40, v20 dst_sel:DWORD dst_unused:UNUSED_PAD src0_sel:WORD_1 src1_sel:DWORD
	v_fma_f16 v14, v14, 2.0, -v30
	v_fma_f16 v31, v31, 2.0, -v15
	v_sub_f16_e32 v34, v17, v34
	v_sub_f16_e32 v16, v62, v16
	ds_write2_b32 v42, v5, v6 offset1:17
	v_pack_b32_f16 v5, v13, v29
	v_pack_b32_f16 v6, v28, v12
	v_lshrrev_b32_e32 v66, 16, v9
	v_fma_f16 v20, v40, v67, -v20
	v_fma_f16 v17, v17, 2.0, -v34
	v_fma_f16 v38, v62, 2.0, -v16
	v_sub_f16_e32 v35, v18, v35
	v_sub_f16_e32 v19, v64, v19
	ds_write2_b32 v43, v5, v6 offset1:17
	v_pack_b32_f16 v5, v14, v31
	v_pack_b32_f16 v6, v30, v15
	v_fma_f16 v18, v18, 2.0, -v35
	v_fma_f16 v39, v64, 2.0, -v19
	v_sub_f16_e32 v36, v9, v36
	v_sub_f16_e32 v20, v66, v20
	ds_write2_b32 v44, v5, v6 offset1:17
	v_pack_b32_f16 v5, v17, v38
	v_pack_b32_f16 v6, v34, v16
	v_fma_f16 v9, v9, 2.0, -v36
	v_fma_f16 v40, v66, 2.0, -v20
	ds_write2_b32 v45, v5, v6 offset1:17
	v_pack_b32_f16 v5, v18, v39
	v_pack_b32_f16 v6, v35, v19
	ds_write2_b32 v46, v5, v6 offset1:17
	v_pack_b32_f16 v5, v9, v40
	v_pack_b32_f16 v6, v36, v20
	ds_write2_b32 v47, v5, v6 offset1:17
	s_waitcnt lgkmcnt(0)
	s_barrier
	ds_read2_b32 v[5:6], v32 offset0:68 offset1:102
	ds_read2_b32 v[9:10], v32 offset1:34
	ds_read2_b32 v[11:12], v32 offset0:136 offset1:170
	ds_read2_b32 v[13:14], v32 offset0:204 offset1:238
	;; [unrolled: 1-line block ×5, first 2 shown]
	s_waitcnt lgkmcnt(4)
	v_lshrrev_b32_e32 v26, 16, v11
	s_waitcnt lgkmcnt(3)
	v_lshrrev_b32_e32 v27, 16, v13
	v_lshrrev_b32_e32 v22, 16, v5
	v_mul_f16_sdwa v39, v0, v22 dst_sel:DWORD dst_unused:UNUSED_PAD src0_sel:WORD_1 src1_sel:DWORD
	v_fma_f16 v39, v0, v5, v39
	v_mul_f16_sdwa v5, v0, v5 dst_sel:DWORD dst_unused:UNUSED_PAD src0_sel:WORD_1 src1_sel:DWORD
	v_fma_f16 v5, v0, v22, -v5
	v_mul_f16_sdwa v22, v1, v26 dst_sel:DWORD dst_unused:UNUSED_PAD src0_sel:WORD_1 src1_sel:DWORD
	v_fma_f16 v22, v1, v11, v22
	v_mul_f16_sdwa v11, v1, v11 dst_sel:DWORD dst_unused:UNUSED_PAD src0_sel:WORD_1 src1_sel:DWORD
	v_fma_f16 v11, v1, v26, -v11
	v_mul_f16_sdwa v26, v2, v27 dst_sel:DWORD dst_unused:UNUSED_PAD src0_sel:WORD_1 src1_sel:DWORD
	s_waitcnt lgkmcnt(2)
	v_lshrrev_b32_e32 v28, 16, v15
	v_fma_f16 v26, v2, v13, v26
	v_mul_f16_sdwa v13, v2, v13 dst_sel:DWORD dst_unused:UNUSED_PAD src0_sel:WORD_1 src1_sel:DWORD
	v_fma_f16 v13, v2, v27, -v13
	v_mul_f16_sdwa v27, v3, v28 dst_sel:DWORD dst_unused:UNUSED_PAD src0_sel:WORD_1 src1_sel:DWORD
	s_waitcnt lgkmcnt(1)
	v_lshrrev_b32_e32 v29, 16, v17
	;; [unrolled: 6-line block ×3, first 2 shown]
	v_fma_f16 v28, v7, v17, v28
	v_mul_f16_sdwa v17, v7, v17 dst_sel:DWORD dst_unused:UNUSED_PAD src0_sel:WORD_1 src1_sel:DWORD
	v_fma_f16 v17, v7, v29, -v17
	v_mul_f16_sdwa v29, v8, v30 dst_sel:DWORD dst_unused:UNUSED_PAD src0_sel:WORD_1 src1_sel:DWORD
	v_lshrrev_b32_e32 v31, 16, v6
	v_fma_f16 v29, v8, v19, v29
	v_mul_f16_sdwa v19, v8, v19 dst_sel:DWORD dst_unused:UNUSED_PAD src0_sel:WORD_1 src1_sel:DWORD
	v_fma_f16 v19, v8, v30, -v19
	v_mul_f16_sdwa v30, v0, v31 dst_sel:DWORD dst_unused:UNUSED_PAD src0_sel:WORD_1 src1_sel:DWORD
	v_lshrrev_b32_e32 v34, 16, v12
	v_fma_f16 v30, v0, v6, v30
	v_mul_f16_sdwa v6, v0, v6 dst_sel:DWORD dst_unused:UNUSED_PAD src0_sel:WORD_1 src1_sel:DWORD
	v_fma_f16 v0, v0, v31, -v6
	v_mul_f16_sdwa v6, v1, v34 dst_sel:DWORD dst_unused:UNUSED_PAD src0_sel:WORD_1 src1_sel:DWORD
	v_lshrrev_b32_e32 v35, 16, v14
	v_fma_f16 v6, v1, v12, v6
	v_mul_f16_sdwa v12, v1, v12 dst_sel:DWORD dst_unused:UNUSED_PAD src0_sel:WORD_1 src1_sel:DWORD
	v_fma_f16 v1, v1, v34, -v12
	v_mul_f16_sdwa v12, v2, v35 dst_sel:DWORD dst_unused:UNUSED_PAD src0_sel:WORD_1 src1_sel:DWORD
	v_lshrrev_b32_e32 v36, 16, v16
	v_fma_f16 v12, v2, v14, v12
	v_mul_f16_sdwa v14, v2, v14 dst_sel:DWORD dst_unused:UNUSED_PAD src0_sel:WORD_1 src1_sel:DWORD
	v_fma_f16 v2, v2, v35, -v14
	v_mul_f16_sdwa v14, v3, v36 dst_sel:DWORD dst_unused:UNUSED_PAD src0_sel:WORD_1 src1_sel:DWORD
	v_lshrrev_b32_e32 v37, 16, v18
	v_fma_f16 v14, v3, v16, v14
	v_mul_f16_sdwa v16, v3, v16 dst_sel:DWORD dst_unused:UNUSED_PAD src0_sel:WORD_1 src1_sel:DWORD
	v_fma_f16 v3, v3, v36, -v16
	v_mul_f16_sdwa v16, v7, v37 dst_sel:DWORD dst_unused:UNUSED_PAD src0_sel:WORD_1 src1_sel:DWORD
	v_lshrrev_b32_e32 v38, 16, v20
	v_fma_f16 v16, v7, v18, v16
	v_mul_f16_sdwa v18, v7, v18 dst_sel:DWORD dst_unused:UNUSED_PAD src0_sel:WORD_1 src1_sel:DWORD
	v_fma_f16 v7, v7, v37, -v18
	v_mul_f16_sdwa v18, v8, v38 dst_sel:DWORD dst_unused:UNUSED_PAD src0_sel:WORD_1 src1_sel:DWORD
	v_fma_f16 v18, v8, v20, v18
	v_mul_f16_sdwa v20, v8, v20 dst_sel:DWORD dst_unused:UNUSED_PAD src0_sel:WORD_1 src1_sel:DWORD
	v_fma_f16 v8, v8, v38, -v20
	v_add_f16_e32 v20, v39, v29
	v_add_f16_e32 v31, v5, v19
	v_sub_f16_e32 v5, v5, v19
	v_add_f16_e32 v19, v22, v28
	v_add_f16_e32 v34, v11, v17
	v_sub_f16_e32 v29, v39, v29
	v_sub_f16_e32 v22, v22, v28
	;; [unrolled: 1-line block ×3, first 2 shown]
	v_add_f16_e32 v17, v26, v27
	v_add_f16_e32 v28, v13, v15
	v_sub_f16_e32 v26, v27, v26
	v_sub_f16_e32 v13, v15, v13
	v_add_f16_e32 v15, v19, v20
	v_add_f16_e32 v27, v34, v31
	v_sub_f16_e32 v35, v19, v20
	v_sub_f16_e32 v36, v34, v31
	;; [unrolled: 1-line block ×6, first 2 shown]
	v_add_f16_e32 v37, v26, v22
	v_add_f16_e32 v38, v13, v11
	v_sub_f16_e32 v39, v26, v22
	v_sub_f16_e32 v40, v13, v11
	;; [unrolled: 1-line block ×4, first 2 shown]
	v_add_f16_e32 v15, v17, v15
	v_add_f16_e32 v17, v28, v27
	v_sub_f16_e32 v26, v29, v26
	v_sub_f16_e32 v13, v5, v13
	v_add_f16_e32 v27, v37, v29
	v_add_f16_e32 v5, v38, v5
	;; [unrolled: 1-line block ×3, first 2 shown]
	v_add_f16_sdwa v9, v9, v17 dst_sel:DWORD dst_unused:UNUSED_PAD src0_sel:WORD_1 src1_sel:DWORD
	v_mul_f16_e32 v20, 0x3a52, v20
	v_mul_f16_e32 v29, 0x3a52, v31
	s_movk_i32 s0, 0x2b26
	v_mul_f16_e32 v31, 0x2b26, v19
	v_mul_f16_e32 v37, 0x2b26, v34
	;; [unrolled: 1-line block ×4, first 2 shown]
	s_mov_b32 s1, 0xbb00
	v_mul_f16_e32 v40, 0xbb00, v22
	v_mul_f16_e32 v41, 0xbb00, v11
	s_mov_b32 s2, 0xbcab
	s_movk_i32 s3, 0x39e0
	s_mov_b32 s4, 0xb9e0
	s_mov_b32 s5, 0xb574
	s_movk_i32 s14, 0x3574
	v_fma_f16 v15, v15, s2, v28
	v_fma_f16 v17, v17, s2, v9
	;; [unrolled: 1-line block ×4, first 2 shown]
	v_fma_f16 v31, v35, s3, -v31
	v_fma_f16 v37, v36, s3, -v37
	;; [unrolled: 1-line block ×4, first 2 shown]
	v_fma_f16 v35, v26, s5, v38
	v_fma_f16 v36, v13, s5, v39
	v_fma_f16 v11, v11, s1, -v39
	v_fma_f16 v26, v26, s14, -v40
	;; [unrolled: 1-line block ×3, first 2 shown]
	s_mov_b32 s15, 0xb70e
	v_fma_f16 v22, v22, s1, -v38
	v_add_f16_e32 v19, v19, v15
	v_add_f16_e32 v34, v34, v17
	;; [unrolled: 1-line block ×6, first 2 shown]
	v_fma_f16 v20, v27, s15, v35
	v_fma_f16 v29, v5, s15, v36
	;; [unrolled: 1-line block ×6, first 2 shown]
	v_add_f16_e32 v13, v29, v19
	v_sub_f16_e32 v27, v34, v20
	v_add_f16_e32 v35, v5, v15
	v_sub_f16_e32 v36, v17, v26
	v_sub_f16_e32 v5, v15, v5
	v_add_f16_e32 v15, v26, v17
	v_sub_f16_e32 v17, v19, v29
	v_add_f16_e32 v19, v20, v34
	v_add_f16_e32 v20, v30, v18
	;; [unrolled: 1-line block ×3, first 2 shown]
	v_sub_f16_e32 v0, v0, v8
	v_add_f16_e32 v8, v6, v16
	v_add_f16_e32 v29, v1, v7
	v_sub_f16_e32 v18, v30, v18
	v_sub_f16_e32 v6, v6, v16
	;; [unrolled: 1-line block ×3, first 2 shown]
	v_add_f16_e32 v7, v12, v14
	v_add_f16_e32 v16, v2, v3
	v_sub_f16_e32 v12, v14, v12
	v_sub_f16_e32 v2, v3, v2
	v_add_f16_e32 v3, v8, v20
	v_add_f16_e32 v14, v29, v26
	v_sub_f16_e32 v38, v31, v11
	v_add_f16_e32 v39, v22, v37
	v_add_f16_e32 v11, v11, v31
	v_sub_f16_e32 v22, v37, v22
	v_sub_f16_e32 v30, v8, v20
	;; [unrolled: 1-line block ×7, first 2 shown]
	v_add_f16_e32 v34, v12, v6
	v_add_f16_e32 v37, v2, v1
	v_sub_f16_e32 v40, v12, v6
	v_sub_f16_e32 v41, v2, v1
	;; [unrolled: 1-line block ×4, first 2 shown]
	v_add_f16_e32 v3, v7, v3
	v_add_f16_e32 v7, v16, v14
	v_sub_f16_e32 v12, v18, v12
	v_sub_f16_e32 v2, v0, v2
	v_add_f16_e32 v14, v34, v18
	v_add_f16_e32 v0, v37, v0
	;; [unrolled: 1-line block ×3, first 2 shown]
	v_add_f16_sdwa v10, v10, v7 dst_sel:DWORD dst_unused:UNUSED_PAD src0_sel:WORD_1 src1_sel:DWORD
	v_mul_f16_e32 v18, 0x3a52, v20
	v_mul_f16_e32 v20, 0x3a52, v26
	;; [unrolled: 1-line block ×8, first 2 shown]
	v_fma_f16 v3, v3, s2, v16
	v_fma_f16 v7, v7, s2, v10
	;; [unrolled: 1-line block ×4, first 2 shown]
	v_fma_f16 v26, v30, s3, -v26
	v_fma_f16 v34, v31, s3, -v34
	;; [unrolled: 1-line block ×4, first 2 shown]
	v_fma_f16 v30, v12, s5, v37
	v_fma_f16 v31, v2, s5, v40
	v_fma_f16 v1, v1, s1, -v40
	v_fma_f16 v12, v12, s14, -v41
	;; [unrolled: 1-line block ×3, first 2 shown]
	v_add_f16_e32 v8, v8, v3
	v_add_f16_e32 v29, v29, v7
	;; [unrolled: 1-line block ×6, first 2 shown]
	v_fma_f16 v20, v0, s15, v31
	v_fma_f16 v1, v0, s15, v1
	;; [unrolled: 1-line block ×5, first 2 shown]
	v_add_f16_e32 v30, v0, v3
	v_sub_f16_e32 v31, v7, v12
	v_sub_f16_e32 v0, v3, v0
	v_add_f16_e32 v3, v12, v7
	v_pack_b32_f16 v9, v28, v9
	v_pack_b32_f16 v12, v13, v27
	s_barrier
	ds_write2_b32 v32, v9, v12 offset1:34
	v_pack_b32_f16 v9, v35, v36
	v_pack_b32_f16 v12, v38, v39
	v_fma_f16 v6, v6, s1, -v37
	ds_write2_b32 v32, v9, v12 offset0:68 offset1:102
	v_pack_b32_f16 v9, v11, v22
	v_pack_b32_f16 v5, v5, v15
	v_fma_f16 v6, v14, s15, v6
	v_add_f16_e32 v2, v20, v8
	v_sub_f16_e32 v14, v29, v18
	ds_write2_b32 v32, v9, v5 offset0:136 offset1:170
	v_pack_b32_f16 v5, v17, v19
	v_pack_b32_f16 v9, v16, v10
	v_sub_f16_e32 v37, v26, v1
	v_add_f16_e32 v40, v6, v34
	v_add_f16_e32 v1, v1, v26
	v_sub_f16_e32 v6, v34, v6
	ds_write2_b32 v32, v5, v9 offset0:204 offset1:238
	v_pack_b32_f16 v2, v2, v14
	v_pack_b32_f16 v5, v30, v31
	v_sub_f16_e32 v7, v8, v20
	v_add_f16_e32 v8, v18, v29
	ds_write2_b32 v21, v2, v5 offset0:16 offset1:50
	v_pack_b32_f16 v2, v37, v40
	v_pack_b32_f16 v1, v1, v6
	ds_write2_b32 v21, v2, v1 offset0:84 offset1:118
	v_pack_b32_f16 v0, v0, v3
	v_pack_b32_f16 v1, v7, v8
	ds_write2_b32 v21, v0, v1 offset0:152 offset1:186
	s_waitcnt lgkmcnt(0)
	s_barrier
	ds_read2_b32 v[0:1], v32 offset1:34
	ds_read2_b32 v[2:3], v32 offset0:204 offset1:238
	ds_read2_b32 v[5:6], v21 offset0:16 offset1:50
	;; [unrolled: 1-line block ×6, first 2 shown]
	s_waitcnt lgkmcnt(5)
	v_lshrrev_b32_e32 v16, 16, v3
	v_mul_f16_sdwa v32, v48, v16 dst_sel:DWORD dst_unused:UNUSED_PAD src0_sel:WORD_1 src1_sel:DWORD
	s_waitcnt lgkmcnt(4)
	v_lshrrev_b32_e32 v18, 16, v5
	v_fma_f16 v32, v48, v3, v32
	v_mul_f16_sdwa v3, v48, v3 dst_sel:DWORD dst_unused:UNUSED_PAD src0_sel:WORD_1 src1_sel:DWORD
	v_fma_f16 v3, v48, v16, -v3
	v_mul_f16_sdwa v16, v49, v18 dst_sel:DWORD dst_unused:UNUSED_PAD src0_sel:WORD_1 src1_sel:DWORD
	v_lshrrev_b32_e32 v20, 16, v6
	v_fma_f16 v16, v49, v5, v16
	v_mul_f16_sdwa v5, v49, v5 dst_sel:DWORD dst_unused:UNUSED_PAD src0_sel:WORD_1 src1_sel:DWORD
	v_fma_f16 v5, v49, v18, -v5
	v_mul_f16_sdwa v18, v50, v20 dst_sel:DWORD dst_unused:UNUSED_PAD src0_sel:WORD_1 src1_sel:DWORD
	s_waitcnt lgkmcnt(2)
	v_lshrrev_b32_e32 v21, 16, v9
	v_fma_f16 v18, v50, v6, v18
	v_mul_f16_sdwa v6, v50, v6 dst_sel:DWORD dst_unused:UNUSED_PAD src0_sel:WORD_1 src1_sel:DWORD
	v_fma_f16 v6, v50, v20, -v6
	v_mul_f16_sdwa v20, v51, v21 dst_sel:DWORD dst_unused:UNUSED_PAD src0_sel:WORD_1 src1_sel:DWORD
	v_lshrrev_b32_e32 v27, 16, v10
	v_fma_f16 v20, v51, v9, v20
	v_mul_f16_sdwa v9, v51, v9 dst_sel:DWORD dst_unused:UNUSED_PAD src0_sel:WORD_1 src1_sel:DWORD
	v_fma_f16 v9, v51, v21, -v9
	;; [unrolled: 11-line block ×3, first 2 shown]
	v_mul_f16_sdwa v29, v54, v31 dst_sel:DWORD dst_unused:UNUSED_PAD src0_sel:WORD_1 src1_sel:DWORD
	v_lshrrev_b32_e32 v15, 16, v0
	v_lshrrev_b32_e32 v17, 16, v1
	v_fma_f16 v29, v54, v14, v29
	v_mul_f16_sdwa v14, v54, v14 dst_sel:DWORD dst_unused:UNUSED_PAD src0_sel:WORD_1 src1_sel:DWORD
	v_fma_f16 v14, v54, v31, -v14
	v_sub_f16_e32 v31, v0, v32
	v_sub_f16_e32 v3, v15, v3
	;; [unrolled: 1-line block ×4, first 2 shown]
	v_lshrrev_b32_e32 v19, 16, v7
	v_fma_f16 v0, v0, 2.0, -v31
	v_fma_f16 v15, v15, 2.0, -v3
	;; [unrolled: 1-line block ×4, first 2 shown]
	v_sub_f16_e32 v18, v7, v18
	v_sub_f16_e32 v6, v19, v6
	v_pack_b32_f16 v0, v0, v15
	v_pack_b32_f16 v1, v1, v17
	v_lshrrev_b32_e32 v22, 16, v8
	v_fma_f16 v7, v7, 2.0, -v18
	v_fma_f16 v19, v19, 2.0, -v6
	v_pack_b32_f16 v3, v31, v3
	ds_write2_b32 v55, v0, v1 offset1:34
	v_pack_b32_f16 v0, v16, v5
	v_add_u32_e32 v1, 0x200, v55
	v_sub_f16_e32 v20, v8, v20
	v_sub_f16_e32 v9, v22, v9
	ds_write2_b32 v1, v3, v0 offset0:110 offset1:144
	v_pack_b32_f16 v0, v7, v19
	v_lshrrev_b32_e32 v26, 16, v11
	v_fma_f16 v8, v8, 2.0, -v20
	v_fma_f16 v22, v22, 2.0, -v9
	ds_write_b32 v55, v0 offset:272
	v_pack_b32_f16 v0, v18, v6
	v_sub_f16_e32 v21, v11, v21
	v_sub_f16_e32 v10, v26, v10
	ds_write_b32 v60, v0 offset:952
	v_pack_b32_f16 v0, v8, v22
	v_lshrrev_b32_e32 v28, 16, v12
	v_fma_f16 v11, v11, 2.0, -v21
	v_fma_f16 v26, v26, 2.0, -v10
	ds_write_b32 v55, v0 offset:408
	v_pack_b32_f16 v0, v20, v9
	v_sub_f16_e32 v27, v12, v27
	v_sub_f16_e32 v13, v28, v13
	ds_write_b32 v59, v0 offset:952
	;; [unrolled: 9-line block ×3, first 2 shown]
	v_pack_b32_f16 v0, v12, v28
	v_fma_f16 v2, v2, 2.0, -v29
	v_fma_f16 v30, v30, 2.0, -v14
	ds_write_b32 v55, v0 offset:680
	v_pack_b32_f16 v0, v27, v13
	ds_write_b32 v57, v0 offset:952
	v_pack_b32_f16 v0, v2, v30
	;; [unrolled: 2-line block ×3, first 2 shown]
	ds_write_b32 v56, v0 offset:952
	s_waitcnt lgkmcnt(0)
	s_barrier
	s_and_b64 exec, exec, vcc
	s_cbranch_execz .LBB0_15
; %bb.14:
	global_load_dword v8, v24, s[6:7]
	v_mad_u64_u32 v[5:6], s[0:1], s8, v23, 0
	v_mad_u64_u32 v[1:2], s[0:1], s10, v4, 0
	ds_read_b32 v9, v55
	v_mov_b32_e32 v3, v6
	v_mad_u64_u32 v[6:7], s[0:1], s11, v4, v[2:3]
	v_mad_u64_u32 v[3:4], s[0:1], s9, v23, v[3:4]
	s_waitcnt lgkmcnt(0)
	v_lshrrev_b32_e32 v4, 16, v9
	v_mov_b32_e32 v2, v6
	v_mov_b32_e32 v6, v3
	s_mov_b32 s14, 0x1135c811
	s_mov_b32 s15, 0x3f6135c8
	v_lshlrev_b64 v[1:2], 2, v[1:2]
	v_mov_b32_e32 v10, s13
	v_lshlrev_b64 v[5:6], 2, v[5:6]
	v_add_co_u32_e32 v1, vcc, s12, v1
	v_addc_co_u32_e32 v2, vcc, v10, v2, vcc
	s_movk_i32 s16, 0x1ff
	v_add_co_u32_e32 v5, vcc, v1, v5
	v_addc_co_u32_e32 v6, vcc, v2, v6, vcc
	s_movk_i32 s10, 0xffe
	v_mov_b32_e32 v0, 0x7c00
	s_movk_i32 s18, 0x40f
	s_mov_b32 s17, 0x8000
	s_mul_hi_u32 s12, s8, 0x70
	s_mul_i32 s11, s8, 0x70
	s_waitcnt vmcnt(0)
	v_mul_f16_sdwa v3, v4, v8 dst_sel:DWORD dst_unused:UNUSED_PAD src0_sel:DWORD src1_sel:WORD_1
	v_fma_f16 v3, v9, v8, v3
	v_mul_f16_sdwa v7, v9, v8 dst_sel:DWORD dst_unused:UNUSED_PAD src0_sel:DWORD src1_sel:WORD_1
	v_cvt_f32_f16_e32 v3, v3
	v_fma_f16 v4, v8, v4, -v7
	v_cvt_f32_f16_e32 v7, v4
	v_cvt_f64_f32_e32 v[3:4], v3
	v_cvt_f64_f32_e32 v[7:8], v7
	v_mul_f64 v[3:4], v[3:4], s[14:15]
	v_mul_f64 v[7:8], v[7:8], s[14:15]
	v_and_or_b32 v3, v4, s16, v3
	v_cmp_ne_u32_e32 vcc, 0, v3
	v_and_or_b32 v7, v8, s16, v7
	v_lshrrev_b32_e32 v9, 8, v4
	v_bfe_u32 v10, v4, 20, 11
	v_cndmask_b32_e64 v3, 0, 1, vcc
	v_cmp_ne_u32_e32 vcc, 0, v7
	v_lshrrev_b32_e32 v11, 8, v8
	v_bfe_u32 v12, v8, 20, 11
	v_sub_u32_e32 v13, 0x3f1, v10
	v_cndmask_b32_e64 v7, 0, 1, vcc
	v_and_or_b32 v3, v9, s10, v3
	v_sub_u32_e32 v14, 0x3f1, v12
	v_med3_i32 v9, v13, 0, 13
	v_and_or_b32 v7, v11, s10, v7
	v_or_b32_e32 v13, 0x1000, v3
	v_add_u32_e32 v10, 0xfffffc10, v10
	v_med3_i32 v11, v14, 0, 13
	v_cmp_ne_u32_e32 vcc, 0, v3
	v_or_b32_e32 v15, 0x1000, v7
	v_lshrrev_b32_e32 v17, v9, v13
	v_add_u32_e32 v12, 0xfffffc10, v12
	v_lshl_or_b32 v14, v10, 12, v3
	v_cndmask_b32_e64 v3, 0, 1, vcc
	v_cmp_ne_u32_e32 vcc, 0, v7
	v_lshrrev_b32_e32 v18, v11, v15
	v_lshlrev_b32_e32 v9, v9, v17
	v_lshl_or_b32 v16, v12, 12, v7
	v_cndmask_b32_e64 v7, 0, 1, vcc
	v_lshlrev_b32_e32 v11, v11, v18
	v_cmp_ne_u32_e32 vcc, v9, v13
	v_cndmask_b32_e64 v9, 0, 1, vcc
	v_cmp_ne_u32_e32 vcc, v11, v15
	v_cndmask_b32_e64 v11, 0, 1, vcc
	v_or_b32_e32 v9, v17, v9
	v_cmp_gt_i32_e32 vcc, 1, v10
	v_cndmask_b32_e32 v9, v14, v9, vcc
	v_or_b32_e32 v11, v18, v11
	v_cmp_gt_i32_e32 vcc, 1, v12
	v_and_b32_e32 v13, 7, v9
	v_cndmask_b32_e32 v11, v16, v11, vcc
	v_cmp_lt_i32_e32 vcc, 5, v13
	v_cmp_eq_u32_e64 s[0:1], 3, v13
	v_lshrrev_b32_e32 v9, 2, v9
	v_and_b32_e32 v14, 7, v11
	s_or_b64 vcc, s[0:1], vcc
	v_cmp_lt_i32_e64 s[2:3], 5, v14
	v_cmp_eq_u32_e64 s[4:5], 3, v14
	v_addc_co_u32_e32 v9, vcc, 0, v9, vcc
	v_lshrrev_b32_e32 v11, 2, v11
	s_or_b64 vcc, s[4:5], s[2:3]
	v_addc_co_u32_e32 v11, vcc, 0, v11, vcc
	v_cmp_gt_i32_e32 vcc, 31, v10
	v_cndmask_b32_e32 v9, v0, v9, vcc
	v_cmp_gt_i32_e32 vcc, 31, v12
	v_lshl_or_b32 v3, v3, 9, v0
	v_cndmask_b32_e32 v11, v0, v11, vcc
	v_cmp_eq_u32_e32 vcc, s18, v10
	v_lshrrev_b32_e32 v4, 16, v4
	v_lshl_or_b32 v7, v7, 9, v0
	v_cndmask_b32_e32 v3, v9, v3, vcc
	v_cmp_eq_u32_e32 vcc, s18, v12
	v_lshrrev_b32_e32 v8, 16, v8
	v_cndmask_b32_e32 v7, v11, v7, vcc
	v_and_or_b32 v3, v4, s17, v3
	v_and_or_b32 v4, v8, s17, v7
	v_and_b32_e32 v3, 0xffff, v3
	v_lshl_or_b32 v3, v4, 16, v3
	global_store_dword v[5:6], v3, off
	global_load_dword v4, v24, s[6:7] offset:112
	v_lshl_add_u32 v3, v25, 2, v33
	ds_read2_b32 v[7:8], v3 offset0:28 offset1:56
	s_mul_i32 s0, s9, 0x70
	s_add_i32 s12, s12, s0
	s_waitcnt lgkmcnt(0)
	v_lshrrev_b32_e32 v9, 16, v7
	s_waitcnt vmcnt(0)
	v_mul_f16_sdwa v10, v9, v4 dst_sel:DWORD dst_unused:UNUSED_PAD src0_sel:DWORD src1_sel:WORD_1
	v_fma_f16 v10, v7, v4, v10
	v_mul_f16_sdwa v7, v7, v4 dst_sel:DWORD dst_unused:UNUSED_PAD src0_sel:DWORD src1_sel:WORD_1
	v_cvt_f32_f16_e32 v10, v10
	v_fma_f16 v4, v4, v9, -v7
	v_cvt_f32_f16_e32 v4, v4
	v_mov_b32_e32 v7, s12
	v_cvt_f64_f32_e32 v[9:10], v10
	v_cvt_f64_f32_e32 v[11:12], v4
	v_add_co_u32_e32 v4, vcc, s11, v5
	v_mul_f64 v[9:10], v[9:10], s[14:15]
	v_mul_f64 v[11:12], v[11:12], s[14:15]
	v_addc_co_u32_e32 v5, vcc, v6, v7, vcc
	v_and_or_b32 v6, v10, s16, v9
	v_and_or_b32 v11, v12, s16, v11
	v_cmp_ne_u32_e32 vcc, 0, v6
	v_lshrrev_b32_e32 v7, 8, v10
	v_bfe_u32 v9, v10, 20, 11
	v_cndmask_b32_e64 v6, 0, 1, vcc
	v_cmp_ne_u32_e32 vcc, 0, v11
	v_lshrrev_b32_e32 v13, 8, v12
	v_bfe_u32 v14, v12, 20, 11
	v_sub_u32_e32 v15, 0x3f1, v9
	v_cndmask_b32_e64 v11, 0, 1, vcc
	v_and_or_b32 v6, v7, s10, v6
	v_sub_u32_e32 v16, 0x3f1, v14
	v_med3_i32 v7, v15, 0, 13
	v_and_or_b32 v11, v13, s10, v11
	v_or_b32_e32 v15, 0x1000, v6
	v_add_u32_e32 v9, 0xfffffc10, v9
	v_med3_i32 v13, v16, 0, 13
	v_cmp_ne_u32_e32 vcc, 0, v6
	v_or_b32_e32 v17, 0x1000, v11
	v_lshrrev_b32_e32 v19, v7, v15
	v_add_u32_e32 v14, 0xfffffc10, v14
	v_lshl_or_b32 v16, v9, 12, v6
	v_cndmask_b32_e64 v6, 0, 1, vcc
	v_cmp_ne_u32_e32 vcc, 0, v11
	v_lshrrev_b32_e32 v20, v13, v17
	v_lshlrev_b32_e32 v7, v7, v19
	v_lshl_or_b32 v18, v14, 12, v11
	v_cndmask_b32_e64 v11, 0, 1, vcc
	v_lshlrev_b32_e32 v13, v13, v20
	v_cmp_ne_u32_e32 vcc, v7, v15
	v_cndmask_b32_e64 v7, 0, 1, vcc
	v_cmp_ne_u32_e32 vcc, v13, v17
	v_cndmask_b32_e64 v13, 0, 1, vcc
	v_or_b32_e32 v7, v19, v7
	v_cmp_gt_i32_e32 vcc, 1, v9
	v_cndmask_b32_e32 v7, v16, v7, vcc
	v_or_b32_e32 v13, v20, v13
	v_cmp_gt_i32_e32 vcc, 1, v14
	v_and_b32_e32 v15, 7, v7
	v_cndmask_b32_e32 v13, v18, v13, vcc
	v_cmp_lt_i32_e32 vcc, 5, v15
	v_cmp_eq_u32_e64 s[0:1], 3, v15
	v_lshrrev_b32_e32 v7, 2, v7
	v_and_b32_e32 v16, 7, v13
	s_or_b64 vcc, s[0:1], vcc
	v_cmp_lt_i32_e64 s[2:3], 5, v16
	v_cmp_eq_u32_e64 s[4:5], 3, v16
	v_addc_co_u32_e32 v7, vcc, 0, v7, vcc
	v_lshrrev_b32_e32 v13, 2, v13
	s_or_b64 vcc, s[4:5], s[2:3]
	v_addc_co_u32_e32 v13, vcc, 0, v13, vcc
	v_cmp_gt_i32_e32 vcc, 31, v9
	v_cndmask_b32_e32 v7, v0, v7, vcc
	v_cmp_gt_i32_e32 vcc, 31, v14
	v_lshl_or_b32 v6, v6, 9, v0
	v_cndmask_b32_e32 v13, v0, v13, vcc
	v_cmp_eq_u32_e32 vcc, s18, v9
	v_lshrrev_b32_e32 v10, 16, v10
	v_lshl_or_b32 v11, v11, 9, v0
	v_cndmask_b32_e32 v6, v7, v6, vcc
	v_cmp_eq_u32_e32 vcc, s18, v14
	v_lshrrev_b32_e32 v12, 16, v12
	v_cndmask_b32_e32 v7, v13, v11, vcc
	v_and_or_b32 v6, v10, s17, v6
	v_and_or_b32 v7, v12, s17, v7
	v_and_b32_e32 v6, 0xffff, v6
	v_lshl_or_b32 v6, v7, 16, v6
	global_store_dword v[4:5], v6, off
	global_load_dword v6, v24, s[6:7] offset:224
	v_lshrrev_b32_e32 v7, 16, v8
	v_mov_b32_e32 v10, s12
	v_add_co_u32_e32 v4, vcc, s11, v4
	v_addc_co_u32_e32 v5, vcc, v5, v10, vcc
	s_waitcnt vmcnt(0)
	v_mul_f16_sdwa v9, v7, v6 dst_sel:DWORD dst_unused:UNUSED_PAD src0_sel:DWORD src1_sel:WORD_1
	v_fma_f16 v9, v8, v6, v9
	v_mul_f16_sdwa v8, v8, v6 dst_sel:DWORD dst_unused:UNUSED_PAD src0_sel:DWORD src1_sel:WORD_1
	v_cvt_f32_f16_e32 v9, v9
	v_fma_f16 v6, v6, v7, -v8
	v_cvt_f32_f16_e32 v8, v6
	v_cvt_f64_f32_e32 v[6:7], v9
	v_cvt_f64_f32_e32 v[8:9], v8
	v_mul_f64 v[6:7], v[6:7], s[14:15]
	v_mul_f64 v[8:9], v[8:9], s[14:15]
	v_and_or_b32 v6, v7, s16, v6
	v_cmp_ne_u32_e32 vcc, 0, v6
	v_and_or_b32 v8, v9, s16, v8
	v_lshrrev_b32_e32 v10, 8, v7
	v_bfe_u32 v11, v7, 20, 11
	v_cndmask_b32_e64 v6, 0, 1, vcc
	v_cmp_ne_u32_e32 vcc, 0, v8
	v_lshrrev_b32_e32 v12, 8, v9
	v_bfe_u32 v13, v9, 20, 11
	v_sub_u32_e32 v14, 0x3f1, v11
	v_cndmask_b32_e64 v8, 0, 1, vcc
	v_and_or_b32 v6, v10, s10, v6
	v_sub_u32_e32 v15, 0x3f1, v13
	v_med3_i32 v10, v14, 0, 13
	v_and_or_b32 v8, v12, s10, v8
	v_or_b32_e32 v14, 0x1000, v6
	v_add_u32_e32 v11, 0xfffffc10, v11
	v_med3_i32 v12, v15, 0, 13
	v_cmp_ne_u32_e32 vcc, 0, v6
	v_or_b32_e32 v16, 0x1000, v8
	v_lshrrev_b32_e32 v18, v10, v14
	v_add_u32_e32 v13, 0xfffffc10, v13
	v_lshl_or_b32 v15, v11, 12, v6
	v_cndmask_b32_e64 v6, 0, 1, vcc
	v_cmp_ne_u32_e32 vcc, 0, v8
	v_lshrrev_b32_e32 v19, v12, v16
	v_lshlrev_b32_e32 v10, v10, v18
	v_lshl_or_b32 v17, v13, 12, v8
	v_cndmask_b32_e64 v8, 0, 1, vcc
	v_lshlrev_b32_e32 v12, v12, v19
	v_cmp_ne_u32_e32 vcc, v10, v14
	v_cndmask_b32_e64 v10, 0, 1, vcc
	v_cmp_ne_u32_e32 vcc, v12, v16
	v_cndmask_b32_e64 v12, 0, 1, vcc
	v_or_b32_e32 v10, v18, v10
	v_cmp_gt_i32_e32 vcc, 1, v11
	v_cndmask_b32_e32 v10, v15, v10, vcc
	v_or_b32_e32 v12, v19, v12
	v_cmp_gt_i32_e32 vcc, 1, v13
	v_and_b32_e32 v14, 7, v10
	v_cndmask_b32_e32 v12, v17, v12, vcc
	v_cmp_lt_i32_e32 vcc, 5, v14
	v_cmp_eq_u32_e64 s[0:1], 3, v14
	v_lshrrev_b32_e32 v10, 2, v10
	v_and_b32_e32 v15, 7, v12
	s_or_b64 vcc, s[0:1], vcc
	v_cmp_lt_i32_e64 s[2:3], 5, v15
	v_cmp_eq_u32_e64 s[4:5], 3, v15
	v_addc_co_u32_e32 v10, vcc, 0, v10, vcc
	v_lshrrev_b32_e32 v12, 2, v12
	s_or_b64 vcc, s[4:5], s[2:3]
	v_addc_co_u32_e32 v12, vcc, 0, v12, vcc
	v_cmp_gt_i32_e32 vcc, 31, v11
	v_cndmask_b32_e32 v10, v0, v10, vcc
	v_cmp_gt_i32_e32 vcc, 31, v13
	v_lshl_or_b32 v6, v6, 9, v0
	v_cndmask_b32_e32 v12, v0, v12, vcc
	v_cmp_eq_u32_e32 vcc, s18, v11
	v_lshrrev_b32_e32 v7, 16, v7
	v_lshl_or_b32 v8, v8, 9, v0
	v_cndmask_b32_e32 v6, v10, v6, vcc
	v_cmp_eq_u32_e32 vcc, s18, v13
	v_lshrrev_b32_e32 v9, 16, v9
	v_cndmask_b32_e32 v8, v12, v8, vcc
	v_and_or_b32 v6, v7, s17, v6
	v_and_or_b32 v7, v9, s17, v8
	v_and_b32_e32 v6, 0xffff, v6
	v_lshl_or_b32 v6, v7, 16, v6
	global_store_dword v[4:5], v6, off
	global_load_dword v8, v24, s[6:7] offset:336
	ds_read2_b32 v[6:7], v3 offset0:84 offset1:112
	v_add_co_u32_e32 v4, vcc, s11, v4
	s_waitcnt lgkmcnt(0)
	v_lshrrev_b32_e32 v9, 16, v6
	s_waitcnt vmcnt(0)
	v_mul_f16_sdwa v10, v9, v8 dst_sel:DWORD dst_unused:UNUSED_PAD src0_sel:DWORD src1_sel:WORD_1
	v_fma_f16 v10, v6, v8, v10
	v_mul_f16_sdwa v6, v6, v8 dst_sel:DWORD dst_unused:UNUSED_PAD src0_sel:DWORD src1_sel:WORD_1
	v_cvt_f32_f16_e32 v10, v10
	v_fma_f16 v6, v8, v9, -v6
	v_cvt_f32_f16_e32 v6, v6
	v_cvt_f64_f32_e32 v[8:9], v10
	v_cvt_f64_f32_e32 v[10:11], v6
	v_mov_b32_e32 v6, s12
	v_mul_f64 v[8:9], v[8:9], s[14:15]
	v_addc_co_u32_e32 v5, vcc, v5, v6, vcc
	v_mul_f64 v[10:11], v[10:11], s[14:15]
	v_and_or_b32 v6, v9, s16, v8
	v_cmp_ne_u32_e32 vcc, 0, v6
	v_lshrrev_b32_e32 v8, 8, v9
	v_and_or_b32 v10, v11, s16, v10
	v_bfe_u32 v12, v9, 20, 11
	v_cndmask_b32_e64 v6, 0, 1, vcc
	v_cmp_ne_u32_e32 vcc, 0, v10
	v_lshrrev_b32_e32 v13, 8, v11
	v_bfe_u32 v14, v11, 20, 11
	v_sub_u32_e32 v15, 0x3f1, v12
	v_cndmask_b32_e64 v10, 0, 1, vcc
	v_and_or_b32 v6, v8, s10, v6
	v_sub_u32_e32 v16, 0x3f1, v14
	v_med3_i32 v8, v15, 0, 13
	v_and_or_b32 v10, v13, s10, v10
	v_or_b32_e32 v15, 0x1000, v6
	v_add_u32_e32 v12, 0xfffffc10, v12
	v_med3_i32 v13, v16, 0, 13
	v_cmp_ne_u32_e32 vcc, 0, v6
	v_or_b32_e32 v17, 0x1000, v10
	v_lshrrev_b32_e32 v19, v8, v15
	v_add_u32_e32 v14, 0xfffffc10, v14
	v_lshl_or_b32 v16, v12, 12, v6
	v_cndmask_b32_e64 v6, 0, 1, vcc
	v_cmp_ne_u32_e32 vcc, 0, v10
	v_lshrrev_b32_e32 v20, v13, v17
	v_lshlrev_b32_e32 v8, v8, v19
	v_lshl_or_b32 v18, v14, 12, v10
	v_cndmask_b32_e64 v10, 0, 1, vcc
	v_lshlrev_b32_e32 v13, v13, v20
	v_cmp_ne_u32_e32 vcc, v8, v15
	v_cndmask_b32_e64 v8, 0, 1, vcc
	v_cmp_ne_u32_e32 vcc, v13, v17
	v_cndmask_b32_e64 v13, 0, 1, vcc
	v_or_b32_e32 v8, v19, v8
	v_cmp_gt_i32_e32 vcc, 1, v12
	v_cndmask_b32_e32 v8, v16, v8, vcc
	v_or_b32_e32 v13, v20, v13
	v_cmp_gt_i32_e32 vcc, 1, v14
	v_and_b32_e32 v15, 7, v8
	v_cndmask_b32_e32 v13, v18, v13, vcc
	v_cmp_lt_i32_e32 vcc, 5, v15
	v_cmp_eq_u32_e64 s[0:1], 3, v15
	v_lshrrev_b32_e32 v8, 2, v8
	v_and_b32_e32 v16, 7, v13
	s_or_b64 vcc, s[0:1], vcc
	v_cmp_lt_i32_e64 s[2:3], 5, v16
	v_cmp_eq_u32_e64 s[4:5], 3, v16
	v_addc_co_u32_e32 v8, vcc, 0, v8, vcc
	v_lshrrev_b32_e32 v13, 2, v13
	s_or_b64 vcc, s[4:5], s[2:3]
	v_addc_co_u32_e32 v13, vcc, 0, v13, vcc
	v_cmp_gt_i32_e32 vcc, 31, v12
	v_cndmask_b32_e32 v8, v0, v8, vcc
	v_cmp_gt_i32_e32 vcc, 31, v14
	v_lshl_or_b32 v6, v6, 9, v0
	v_cndmask_b32_e32 v13, v0, v13, vcc
	v_cmp_eq_u32_e32 vcc, s18, v12
	v_lshrrev_b32_e32 v9, 16, v9
	v_lshl_or_b32 v10, v10, 9, v0
	v_cndmask_b32_e32 v6, v8, v6, vcc
	v_cmp_eq_u32_e32 vcc, s18, v14
	v_lshrrev_b32_e32 v11, 16, v11
	v_cndmask_b32_e32 v8, v13, v10, vcc
	v_and_or_b32 v6, v9, s17, v6
	v_and_or_b32 v8, v11, s17, v8
	v_and_b32_e32 v6, 0xffff, v6
	v_lshl_or_b32 v6, v8, 16, v6
	global_store_dword v[4:5], v6, off
	global_load_dword v6, v24, s[6:7] offset:448
	v_lshrrev_b32_e32 v8, 16, v7
	v_mov_b32_e32 v10, s12
	v_add_co_u32_e32 v4, vcc, s11, v4
	v_addc_co_u32_e32 v5, vcc, v5, v10, vcc
	s_waitcnt vmcnt(0)
	v_mul_f16_sdwa v9, v8, v6 dst_sel:DWORD dst_unused:UNUSED_PAD src0_sel:DWORD src1_sel:WORD_1
	v_fma_f16 v9, v7, v6, v9
	v_mul_f16_sdwa v7, v7, v6 dst_sel:DWORD dst_unused:UNUSED_PAD src0_sel:DWORD src1_sel:WORD_1
	v_cvt_f32_f16_e32 v9, v9
	v_fma_f16 v6, v6, v8, -v7
	v_cvt_f32_f16_e32 v8, v6
	v_cvt_f64_f32_e32 v[6:7], v9
	v_cvt_f64_f32_e32 v[8:9], v8
	v_mul_f64 v[6:7], v[6:7], s[14:15]
	v_mul_f64 v[8:9], v[8:9], s[14:15]
	v_and_or_b32 v6, v7, s16, v6
	v_cmp_ne_u32_e32 vcc, 0, v6
	v_and_or_b32 v8, v9, s16, v8
	v_lshrrev_b32_e32 v10, 8, v7
	v_bfe_u32 v11, v7, 20, 11
	v_cndmask_b32_e64 v6, 0, 1, vcc
	v_cmp_ne_u32_e32 vcc, 0, v8
	v_lshrrev_b32_e32 v12, 8, v9
	v_bfe_u32 v13, v9, 20, 11
	v_sub_u32_e32 v14, 0x3f1, v11
	v_cndmask_b32_e64 v8, 0, 1, vcc
	v_and_or_b32 v6, v10, s10, v6
	v_sub_u32_e32 v15, 0x3f1, v13
	v_med3_i32 v10, v14, 0, 13
	v_and_or_b32 v8, v12, s10, v8
	v_or_b32_e32 v14, 0x1000, v6
	v_add_u32_e32 v11, 0xfffffc10, v11
	v_med3_i32 v12, v15, 0, 13
	v_cmp_ne_u32_e32 vcc, 0, v6
	v_or_b32_e32 v16, 0x1000, v8
	v_lshrrev_b32_e32 v18, v10, v14
	v_add_u32_e32 v13, 0xfffffc10, v13
	v_lshl_or_b32 v15, v11, 12, v6
	v_cndmask_b32_e64 v6, 0, 1, vcc
	v_cmp_ne_u32_e32 vcc, 0, v8
	v_lshrrev_b32_e32 v19, v12, v16
	v_lshlrev_b32_e32 v10, v10, v18
	v_lshl_or_b32 v17, v13, 12, v8
	v_cndmask_b32_e64 v8, 0, 1, vcc
	v_lshlrev_b32_e32 v12, v12, v19
	v_cmp_ne_u32_e32 vcc, v10, v14
	v_cndmask_b32_e64 v10, 0, 1, vcc
	v_cmp_ne_u32_e32 vcc, v12, v16
	v_cndmask_b32_e64 v12, 0, 1, vcc
	v_or_b32_e32 v10, v18, v10
	v_cmp_gt_i32_e32 vcc, 1, v11
	v_cndmask_b32_e32 v10, v15, v10, vcc
	v_or_b32_e32 v12, v19, v12
	v_cmp_gt_i32_e32 vcc, 1, v13
	v_and_b32_e32 v14, 7, v10
	v_cndmask_b32_e32 v12, v17, v12, vcc
	v_cmp_lt_i32_e32 vcc, 5, v14
	v_cmp_eq_u32_e64 s[0:1], 3, v14
	v_lshrrev_b32_e32 v10, 2, v10
	v_and_b32_e32 v15, 7, v12
	s_or_b64 vcc, s[0:1], vcc
	v_cmp_lt_i32_e64 s[2:3], 5, v15
	v_cmp_eq_u32_e64 s[4:5], 3, v15
	v_addc_co_u32_e32 v10, vcc, 0, v10, vcc
	v_lshrrev_b32_e32 v12, 2, v12
	s_or_b64 vcc, s[4:5], s[2:3]
	v_addc_co_u32_e32 v12, vcc, 0, v12, vcc
	v_cmp_gt_i32_e32 vcc, 31, v11
	v_cndmask_b32_e32 v10, v0, v10, vcc
	v_cmp_gt_i32_e32 vcc, 31, v13
	v_lshl_or_b32 v6, v6, 9, v0
	v_cndmask_b32_e32 v12, v0, v12, vcc
	v_cmp_eq_u32_e32 vcc, s18, v11
	v_lshrrev_b32_e32 v7, 16, v7
	v_lshl_or_b32 v8, v8, 9, v0
	v_cndmask_b32_e32 v6, v10, v6, vcc
	v_cmp_eq_u32_e32 vcc, s18, v13
	v_lshrrev_b32_e32 v9, 16, v9
	v_cndmask_b32_e32 v8, v12, v8, vcc
	v_and_or_b32 v6, v7, s17, v6
	v_and_or_b32 v7, v9, s17, v8
	v_and_b32_e32 v6, 0xffff, v6
	v_lshl_or_b32 v6, v7, 16, v6
	global_store_dword v[4:5], v6, off
	global_load_dword v8, v24, s[6:7] offset:560
	ds_read2_b32 v[6:7], v3 offset0:140 offset1:168
	v_add_co_u32_e32 v4, vcc, s11, v4
	s_waitcnt lgkmcnt(0)
	v_lshrrev_b32_e32 v9, 16, v6
	s_waitcnt vmcnt(0)
	v_mul_f16_sdwa v10, v9, v8 dst_sel:DWORD dst_unused:UNUSED_PAD src0_sel:DWORD src1_sel:WORD_1
	v_fma_f16 v10, v6, v8, v10
	v_mul_f16_sdwa v6, v6, v8 dst_sel:DWORD dst_unused:UNUSED_PAD src0_sel:DWORD src1_sel:WORD_1
	v_cvt_f32_f16_e32 v10, v10
	v_fma_f16 v6, v8, v9, -v6
	v_cvt_f32_f16_e32 v6, v6
	v_cvt_f64_f32_e32 v[8:9], v10
	v_cvt_f64_f32_e32 v[10:11], v6
	v_mov_b32_e32 v6, s12
	v_mul_f64 v[8:9], v[8:9], s[14:15]
	v_addc_co_u32_e32 v5, vcc, v5, v6, vcc
	v_mul_f64 v[10:11], v[10:11], s[14:15]
	v_and_or_b32 v6, v9, s16, v8
	v_cmp_ne_u32_e32 vcc, 0, v6
	v_lshrrev_b32_e32 v8, 8, v9
	v_and_or_b32 v10, v11, s16, v10
	v_bfe_u32 v12, v9, 20, 11
	v_cndmask_b32_e64 v6, 0, 1, vcc
	v_cmp_ne_u32_e32 vcc, 0, v10
	v_lshrrev_b32_e32 v13, 8, v11
	v_bfe_u32 v14, v11, 20, 11
	v_sub_u32_e32 v15, 0x3f1, v12
	v_cndmask_b32_e64 v10, 0, 1, vcc
	v_and_or_b32 v6, v8, s10, v6
	v_sub_u32_e32 v16, 0x3f1, v14
	v_med3_i32 v8, v15, 0, 13
	v_and_or_b32 v10, v13, s10, v10
	v_or_b32_e32 v15, 0x1000, v6
	v_add_u32_e32 v12, 0xfffffc10, v12
	v_med3_i32 v13, v16, 0, 13
	v_cmp_ne_u32_e32 vcc, 0, v6
	v_or_b32_e32 v17, 0x1000, v10
	v_lshrrev_b32_e32 v19, v8, v15
	v_add_u32_e32 v14, 0xfffffc10, v14
	v_lshl_or_b32 v16, v12, 12, v6
	v_cndmask_b32_e64 v6, 0, 1, vcc
	v_cmp_ne_u32_e32 vcc, 0, v10
	v_lshrrev_b32_e32 v20, v13, v17
	v_lshlrev_b32_e32 v8, v8, v19
	v_lshl_or_b32 v18, v14, 12, v10
	v_cndmask_b32_e64 v10, 0, 1, vcc
	v_lshlrev_b32_e32 v13, v13, v20
	v_cmp_ne_u32_e32 vcc, v8, v15
	v_cndmask_b32_e64 v8, 0, 1, vcc
	v_cmp_ne_u32_e32 vcc, v13, v17
	v_cndmask_b32_e64 v13, 0, 1, vcc
	v_or_b32_e32 v8, v19, v8
	v_cmp_gt_i32_e32 vcc, 1, v12
	v_cndmask_b32_e32 v8, v16, v8, vcc
	v_or_b32_e32 v13, v20, v13
	v_cmp_gt_i32_e32 vcc, 1, v14
	v_and_b32_e32 v15, 7, v8
	v_cndmask_b32_e32 v13, v18, v13, vcc
	v_cmp_lt_i32_e32 vcc, 5, v15
	v_cmp_eq_u32_e64 s[0:1], 3, v15
	v_lshrrev_b32_e32 v8, 2, v8
	v_and_b32_e32 v16, 7, v13
	s_or_b64 vcc, s[0:1], vcc
	v_cmp_lt_i32_e64 s[2:3], 5, v16
	v_cmp_eq_u32_e64 s[4:5], 3, v16
	v_addc_co_u32_e32 v8, vcc, 0, v8, vcc
	v_lshrrev_b32_e32 v13, 2, v13
	s_or_b64 vcc, s[4:5], s[2:3]
	v_addc_co_u32_e32 v13, vcc, 0, v13, vcc
	v_cmp_gt_i32_e32 vcc, 31, v12
	v_cndmask_b32_e32 v8, v0, v8, vcc
	v_cmp_gt_i32_e32 vcc, 31, v14
	v_lshl_or_b32 v6, v6, 9, v0
	v_cndmask_b32_e32 v13, v0, v13, vcc
	v_cmp_eq_u32_e32 vcc, s18, v12
	v_lshrrev_b32_e32 v9, 16, v9
	v_lshl_or_b32 v10, v10, 9, v0
	v_cndmask_b32_e32 v6, v8, v6, vcc
	v_cmp_eq_u32_e32 vcc, s18, v14
	v_lshrrev_b32_e32 v11, 16, v11
	v_cndmask_b32_e32 v8, v13, v10, vcc
	v_and_or_b32 v6, v9, s17, v6
	v_and_or_b32 v8, v11, s17, v8
	v_and_b32_e32 v6, 0xffff, v6
	v_lshl_or_b32 v6, v8, 16, v6
	global_store_dword v[4:5], v6, off
	global_load_dword v6, v24, s[6:7] offset:672
	v_lshrrev_b32_e32 v8, 16, v7
	v_mov_b32_e32 v10, s12
	v_add_co_u32_e32 v4, vcc, s11, v4
	v_addc_co_u32_e32 v5, vcc, v5, v10, vcc
	s_waitcnt vmcnt(0)
	v_mul_f16_sdwa v9, v8, v6 dst_sel:DWORD dst_unused:UNUSED_PAD src0_sel:DWORD src1_sel:WORD_1
	v_fma_f16 v9, v7, v6, v9
	v_mul_f16_sdwa v7, v7, v6 dst_sel:DWORD dst_unused:UNUSED_PAD src0_sel:DWORD src1_sel:WORD_1
	v_cvt_f32_f16_e32 v9, v9
	v_fma_f16 v6, v6, v8, -v7
	v_cvt_f32_f16_e32 v8, v6
	v_cvt_f64_f32_e32 v[6:7], v9
	v_cvt_f64_f32_e32 v[8:9], v8
	v_mul_f64 v[6:7], v[6:7], s[14:15]
	v_mul_f64 v[8:9], v[8:9], s[14:15]
	v_and_or_b32 v6, v7, s16, v6
	v_cmp_ne_u32_e32 vcc, 0, v6
	v_and_or_b32 v8, v9, s16, v8
	v_lshrrev_b32_e32 v10, 8, v7
	v_bfe_u32 v11, v7, 20, 11
	v_cndmask_b32_e64 v6, 0, 1, vcc
	v_cmp_ne_u32_e32 vcc, 0, v8
	v_lshrrev_b32_e32 v12, 8, v9
	v_bfe_u32 v13, v9, 20, 11
	v_sub_u32_e32 v14, 0x3f1, v11
	v_cndmask_b32_e64 v8, 0, 1, vcc
	v_and_or_b32 v6, v10, s10, v6
	v_sub_u32_e32 v15, 0x3f1, v13
	v_med3_i32 v10, v14, 0, 13
	v_and_or_b32 v8, v12, s10, v8
	v_or_b32_e32 v14, 0x1000, v6
	v_add_u32_e32 v11, 0xfffffc10, v11
	v_med3_i32 v12, v15, 0, 13
	v_cmp_ne_u32_e32 vcc, 0, v6
	v_or_b32_e32 v16, 0x1000, v8
	v_lshrrev_b32_e32 v18, v10, v14
	v_add_u32_e32 v13, 0xfffffc10, v13
	v_lshl_or_b32 v15, v11, 12, v6
	v_cndmask_b32_e64 v6, 0, 1, vcc
	v_cmp_ne_u32_e32 vcc, 0, v8
	v_lshrrev_b32_e32 v19, v12, v16
	v_lshlrev_b32_e32 v10, v10, v18
	v_lshl_or_b32 v17, v13, 12, v8
	v_cndmask_b32_e64 v8, 0, 1, vcc
	v_lshlrev_b32_e32 v12, v12, v19
	v_cmp_ne_u32_e32 vcc, v10, v14
	v_cndmask_b32_e64 v10, 0, 1, vcc
	v_cmp_ne_u32_e32 vcc, v12, v16
	v_cndmask_b32_e64 v12, 0, 1, vcc
	v_or_b32_e32 v10, v18, v10
	v_cmp_gt_i32_e32 vcc, 1, v11
	v_cndmask_b32_e32 v10, v15, v10, vcc
	v_or_b32_e32 v12, v19, v12
	v_cmp_gt_i32_e32 vcc, 1, v13
	v_and_b32_e32 v14, 7, v10
	v_cndmask_b32_e32 v12, v17, v12, vcc
	v_cmp_lt_i32_e32 vcc, 5, v14
	v_cmp_eq_u32_e64 s[0:1], 3, v14
	v_lshrrev_b32_e32 v10, 2, v10
	v_and_b32_e32 v15, 7, v12
	s_or_b64 vcc, s[0:1], vcc
	v_cmp_lt_i32_e64 s[2:3], 5, v15
	v_cmp_eq_u32_e64 s[4:5], 3, v15
	v_addc_co_u32_e32 v10, vcc, 0, v10, vcc
	v_lshrrev_b32_e32 v12, 2, v12
	s_or_b64 vcc, s[4:5], s[2:3]
	v_addc_co_u32_e32 v12, vcc, 0, v12, vcc
	v_cmp_gt_i32_e32 vcc, 31, v11
	v_cndmask_b32_e32 v10, v0, v10, vcc
	v_cmp_gt_i32_e32 vcc, 31, v13
	v_lshl_or_b32 v6, v6, 9, v0
	v_cndmask_b32_e32 v12, v0, v12, vcc
	v_cmp_eq_u32_e32 vcc, s18, v11
	v_lshrrev_b32_e32 v7, 16, v7
	v_lshl_or_b32 v8, v8, 9, v0
	v_cndmask_b32_e32 v6, v10, v6, vcc
	v_cmp_eq_u32_e32 vcc, s18, v13
	v_lshrrev_b32_e32 v9, 16, v9
	v_cndmask_b32_e32 v8, v12, v8, vcc
	v_and_or_b32 v6, v7, s17, v6
	v_and_or_b32 v7, v9, s17, v8
	v_and_b32_e32 v6, 0xffff, v6
	v_lshl_or_b32 v6, v7, 16, v6
	global_store_dword v[4:5], v6, off
	global_load_dword v8, v24, s[6:7] offset:784
	ds_read2_b32 v[6:7], v3 offset0:196 offset1:224
	v_add_co_u32_e32 v4, vcc, s11, v4
	s_waitcnt lgkmcnt(0)
	v_lshrrev_b32_e32 v9, 16, v6
	s_waitcnt vmcnt(0)
	v_mul_f16_sdwa v10, v9, v8 dst_sel:DWORD dst_unused:UNUSED_PAD src0_sel:DWORD src1_sel:WORD_1
	v_fma_f16 v10, v6, v8, v10
	v_mul_f16_sdwa v6, v6, v8 dst_sel:DWORD dst_unused:UNUSED_PAD src0_sel:DWORD src1_sel:WORD_1
	v_cvt_f32_f16_e32 v10, v10
	v_fma_f16 v6, v8, v9, -v6
	v_cvt_f32_f16_e32 v6, v6
	v_cvt_f64_f32_e32 v[8:9], v10
	v_cvt_f64_f32_e32 v[10:11], v6
	v_mov_b32_e32 v6, s12
	v_mul_f64 v[8:9], v[8:9], s[14:15]
	v_addc_co_u32_e32 v5, vcc, v5, v6, vcc
	v_mul_f64 v[10:11], v[10:11], s[14:15]
	v_and_or_b32 v6, v9, s16, v8
	v_cmp_ne_u32_e32 vcc, 0, v6
	v_lshrrev_b32_e32 v8, 8, v9
	v_and_or_b32 v10, v11, s16, v10
	v_bfe_u32 v12, v9, 20, 11
	v_cndmask_b32_e64 v6, 0, 1, vcc
	v_cmp_ne_u32_e32 vcc, 0, v10
	v_lshrrev_b32_e32 v13, 8, v11
	v_bfe_u32 v14, v11, 20, 11
	v_sub_u32_e32 v15, 0x3f1, v12
	v_cndmask_b32_e64 v10, 0, 1, vcc
	v_and_or_b32 v6, v8, s10, v6
	v_sub_u32_e32 v16, 0x3f1, v14
	v_med3_i32 v8, v15, 0, 13
	v_and_or_b32 v10, v13, s10, v10
	v_or_b32_e32 v15, 0x1000, v6
	v_add_u32_e32 v12, 0xfffffc10, v12
	v_med3_i32 v13, v16, 0, 13
	v_cmp_ne_u32_e32 vcc, 0, v6
	v_or_b32_e32 v17, 0x1000, v10
	v_lshrrev_b32_e32 v19, v8, v15
	v_add_u32_e32 v14, 0xfffffc10, v14
	v_lshl_or_b32 v16, v12, 12, v6
	v_cndmask_b32_e64 v6, 0, 1, vcc
	v_cmp_ne_u32_e32 vcc, 0, v10
	v_lshrrev_b32_e32 v20, v13, v17
	v_lshlrev_b32_e32 v8, v8, v19
	v_lshl_or_b32 v18, v14, 12, v10
	v_cndmask_b32_e64 v10, 0, 1, vcc
	v_lshlrev_b32_e32 v13, v13, v20
	v_cmp_ne_u32_e32 vcc, v8, v15
	v_cndmask_b32_e64 v8, 0, 1, vcc
	v_cmp_ne_u32_e32 vcc, v13, v17
	v_cndmask_b32_e64 v13, 0, 1, vcc
	v_or_b32_e32 v8, v19, v8
	v_cmp_gt_i32_e32 vcc, 1, v12
	v_cndmask_b32_e32 v8, v16, v8, vcc
	v_or_b32_e32 v13, v20, v13
	v_cmp_gt_i32_e32 vcc, 1, v14
	v_and_b32_e32 v15, 7, v8
	v_cndmask_b32_e32 v13, v18, v13, vcc
	v_cmp_lt_i32_e32 vcc, 5, v15
	v_cmp_eq_u32_e64 s[0:1], 3, v15
	v_lshrrev_b32_e32 v8, 2, v8
	v_and_b32_e32 v16, 7, v13
	s_or_b64 vcc, s[0:1], vcc
	v_cmp_lt_i32_e64 s[2:3], 5, v16
	v_cmp_eq_u32_e64 s[4:5], 3, v16
	v_addc_co_u32_e32 v8, vcc, 0, v8, vcc
	v_lshrrev_b32_e32 v13, 2, v13
	s_or_b64 vcc, s[4:5], s[2:3]
	v_addc_co_u32_e32 v13, vcc, 0, v13, vcc
	v_cmp_gt_i32_e32 vcc, 31, v12
	v_cndmask_b32_e32 v8, v0, v8, vcc
	v_cmp_gt_i32_e32 vcc, 31, v14
	v_lshl_or_b32 v6, v6, 9, v0
	v_cndmask_b32_e32 v13, v0, v13, vcc
	v_cmp_eq_u32_e32 vcc, s18, v12
	v_lshrrev_b32_e32 v9, 16, v9
	v_lshl_or_b32 v10, v10, 9, v0
	v_cndmask_b32_e32 v6, v8, v6, vcc
	v_cmp_eq_u32_e32 vcc, s18, v14
	v_lshrrev_b32_e32 v11, 16, v11
	v_cndmask_b32_e32 v8, v13, v10, vcc
	v_and_or_b32 v6, v9, s17, v6
	v_and_or_b32 v8, v11, s17, v8
	v_and_b32_e32 v6, 0xffff, v6
	v_lshl_or_b32 v6, v8, 16, v6
	global_store_dword v[4:5], v6, off
	global_load_dword v10, v24, s[6:7] offset:896
	v_or_b32_e32 v11, 0xe0, v23
	v_mad_u64_u32 v[8:9], s[0:1], s8, v11, 0
	v_mov_b32_e32 v6, v9
	v_lshrrev_b32_e32 v9, 16, v7
	s_waitcnt vmcnt(0)
	v_mul_f16_sdwa v12, v9, v10 dst_sel:DWORD dst_unused:UNUSED_PAD src0_sel:DWORD src1_sel:WORD_1
	v_fma_f16 v12, v7, v10, v12
	v_mul_f16_sdwa v7, v7, v10 dst_sel:DWORD dst_unused:UNUSED_PAD src0_sel:DWORD src1_sel:WORD_1
	v_cvt_f32_f16_e32 v12, v12
	v_fma_f16 v7, v10, v9, -v7
	v_cvt_f32_f16_e32 v13, v7
	v_mad_u64_u32 v[6:7], s[0:1], s9, v11, v[6:7]
	v_cvt_f64_f32_e32 v[9:10], v12
	v_cvt_f64_f32_e32 v[11:12], v13
	v_mul_f64 v[13:14], v[9:10], s[14:15]
	v_mov_b32_e32 v9, v6
	v_lshlrev_b64 v[6:7], 2, v[8:9]
	v_mul_f64 v[8:9], v[11:12], s[14:15]
	v_add_co_u32_e32 v6, vcc, v1, v6
	v_addc_co_u32_e32 v7, vcc, v2, v7, vcc
	v_and_or_b32 v10, v14, s16, v13
	v_cmp_ne_u32_e32 vcc, 0, v10
	v_lshrrev_b32_e32 v11, 8, v14
	v_and_or_b32 v8, v9, s16, v8
	v_bfe_u32 v12, v14, 20, 11
	v_cndmask_b32_e64 v10, 0, 1, vcc
	v_cmp_ne_u32_e32 vcc, 0, v8
	v_lshrrev_b32_e32 v13, 16, v14
	v_lshrrev_b32_e32 v14, 8, v9
	v_bfe_u32 v15, v9, 20, 11
	v_sub_u32_e32 v16, 0x3f1, v12
	v_cndmask_b32_e64 v8, 0, 1, vcc
	v_and_or_b32 v10, v11, s10, v10
	v_sub_u32_e32 v17, 0x3f1, v15
	v_med3_i32 v11, v16, 0, 13
	v_and_or_b32 v8, v14, s10, v8
	v_or_b32_e32 v16, 0x1000, v10
	v_add_u32_e32 v12, 0xfffffc10, v12
	v_med3_i32 v14, v17, 0, 13
	v_cmp_ne_u32_e32 vcc, 0, v10
	v_or_b32_e32 v18, 0x1000, v8
	v_lshrrev_b32_e32 v20, v11, v16
	v_add_u32_e32 v15, 0xfffffc10, v15
	v_lshl_or_b32 v17, v12, 12, v10
	v_cndmask_b32_e64 v10, 0, 1, vcc
	v_cmp_ne_u32_e32 vcc, 0, v8
	v_lshrrev_b32_e32 v21, v14, v18
	v_lshlrev_b32_e32 v11, v11, v20
	v_lshl_or_b32 v19, v15, 12, v8
	v_cndmask_b32_e64 v8, 0, 1, vcc
	v_lshlrev_b32_e32 v14, v14, v21
	v_cmp_ne_u32_e32 vcc, v11, v16
	v_cndmask_b32_e64 v11, 0, 1, vcc
	v_cmp_ne_u32_e32 vcc, v14, v18
	v_cndmask_b32_e64 v14, 0, 1, vcc
	v_or_b32_e32 v11, v20, v11
	v_cmp_gt_i32_e32 vcc, 1, v12
	v_cndmask_b32_e32 v11, v17, v11, vcc
	v_or_b32_e32 v14, v21, v14
	v_cmp_gt_i32_e32 vcc, 1, v15
	v_and_b32_e32 v16, 7, v11
	v_cndmask_b32_e32 v14, v19, v14, vcc
	v_cmp_lt_i32_e32 vcc, 5, v16
	v_cmp_eq_u32_e64 s[0:1], 3, v16
	v_lshrrev_b32_e32 v11, 2, v11
	v_and_b32_e32 v17, 7, v14
	s_or_b64 vcc, s[0:1], vcc
	v_cmp_lt_i32_e64 s[2:3], 5, v17
	v_cmp_eq_u32_e64 s[4:5], 3, v17
	v_addc_co_u32_e32 v11, vcc, 0, v11, vcc
	v_lshrrev_b32_e32 v14, 2, v14
	s_or_b64 vcc, s[4:5], s[2:3]
	v_addc_co_u32_e32 v14, vcc, 0, v14, vcc
	v_cmp_gt_i32_e32 vcc, 31, v12
	v_cndmask_b32_e32 v11, v0, v11, vcc
	v_cmp_gt_i32_e32 vcc, 31, v15
	v_lshl_or_b32 v10, v10, 9, v0
	v_cndmask_b32_e32 v14, v0, v14, vcc
	v_cmp_eq_u32_e32 vcc, s18, v12
	v_lshl_or_b32 v8, v8, 9, v0
	v_cndmask_b32_e32 v10, v11, v10, vcc
	v_cmp_eq_u32_e32 vcc, s18, v15
	v_lshrrev_b32_e32 v9, 16, v9
	v_cndmask_b32_e32 v8, v14, v8, vcc
	v_and_or_b32 v10, v13, s17, v10
	v_and_or_b32 v8, v9, s17, v8
	v_and_b32_e32 v9, 0xffff, v10
	v_lshl_or_b32 v8, v8, 16, v9
	global_store_dword v[6:7], v8, off
	global_load_dword v8, v24, s[6:7] offset:1008
	v_add_u32_e32 v6, 0x200, v3
	ds_read2_b32 v[6:7], v6 offset0:124 offset1:152
	v_add_u32_e32 v3, 0x400, v3
	s_waitcnt lgkmcnt(0)
	v_lshrrev_b32_e32 v9, 16, v6
	s_waitcnt vmcnt(0)
	v_mul_f16_sdwa v10, v9, v8 dst_sel:DWORD dst_unused:UNUSED_PAD src0_sel:DWORD src1_sel:WORD_1
	v_fma_f16 v10, v6, v8, v10
	v_mul_f16_sdwa v6, v6, v8 dst_sel:DWORD dst_unused:UNUSED_PAD src0_sel:DWORD src1_sel:WORD_1
	v_cvt_f32_f16_e32 v10, v10
	v_fma_f16 v6, v8, v9, -v6
	v_cvt_f32_f16_e32 v6, v6
	v_cvt_f64_f32_e32 v[8:9], v10
	v_cvt_f64_f32_e32 v[10:11], v6
	v_mov_b32_e32 v6, 0xe0
	v_mul_f64 v[8:9], v[8:9], s[14:15]
	v_mad_u64_u32 v[4:5], s[0:1], s8, v6, v[4:5]
	v_mul_f64 v[10:11], v[10:11], s[14:15]
	s_mul_i32 s0, s9, 0xe0
	v_add_u32_e32 v5, s0, v5
	v_and_or_b32 v6, v9, s16, v8
	v_cmp_ne_u32_e32 vcc, 0, v6
	v_lshrrev_b32_e32 v8, 8, v9
	v_and_or_b32 v10, v11, s16, v10
	v_bfe_u32 v12, v9, 20, 11
	v_cndmask_b32_e64 v6, 0, 1, vcc
	v_cmp_ne_u32_e32 vcc, 0, v10
	v_lshrrev_b32_e32 v13, 8, v11
	v_bfe_u32 v14, v11, 20, 11
	v_sub_u32_e32 v15, 0x3f1, v12
	v_cndmask_b32_e64 v10, 0, 1, vcc
	v_and_or_b32 v6, v8, s10, v6
	v_sub_u32_e32 v16, 0x3f1, v14
	v_med3_i32 v8, v15, 0, 13
	v_and_or_b32 v10, v13, s10, v10
	v_or_b32_e32 v15, 0x1000, v6
	v_add_u32_e32 v12, 0xfffffc10, v12
	v_med3_i32 v13, v16, 0, 13
	v_cmp_ne_u32_e32 vcc, 0, v6
	v_or_b32_e32 v17, 0x1000, v10
	v_lshrrev_b32_e32 v19, v8, v15
	v_add_u32_e32 v14, 0xfffffc10, v14
	v_lshl_or_b32 v16, v12, 12, v6
	v_cndmask_b32_e64 v6, 0, 1, vcc
	v_cmp_ne_u32_e32 vcc, 0, v10
	v_lshrrev_b32_e32 v20, v13, v17
	v_lshlrev_b32_e32 v8, v8, v19
	v_lshl_or_b32 v18, v14, 12, v10
	v_cndmask_b32_e64 v10, 0, 1, vcc
	v_lshlrev_b32_e32 v13, v13, v20
	v_cmp_ne_u32_e32 vcc, v8, v15
	v_cndmask_b32_e64 v8, 0, 1, vcc
	v_cmp_ne_u32_e32 vcc, v13, v17
	v_cndmask_b32_e64 v13, 0, 1, vcc
	v_or_b32_e32 v8, v19, v8
	v_cmp_gt_i32_e32 vcc, 1, v12
	v_cndmask_b32_e32 v8, v16, v8, vcc
	v_or_b32_e32 v13, v20, v13
	v_cmp_gt_i32_e32 vcc, 1, v14
	v_and_b32_e32 v15, 7, v8
	v_cndmask_b32_e32 v13, v18, v13, vcc
	v_cmp_lt_i32_e32 vcc, 5, v15
	v_cmp_eq_u32_e64 s[0:1], 3, v15
	v_lshrrev_b32_e32 v8, 2, v8
	v_and_b32_e32 v16, 7, v13
	s_or_b64 vcc, s[0:1], vcc
	v_cmp_lt_i32_e64 s[2:3], 5, v16
	v_cmp_eq_u32_e64 s[4:5], 3, v16
	v_addc_co_u32_e32 v8, vcc, 0, v8, vcc
	v_lshrrev_b32_e32 v13, 2, v13
	s_or_b64 vcc, s[4:5], s[2:3]
	v_addc_co_u32_e32 v13, vcc, 0, v13, vcc
	v_cmp_gt_i32_e32 vcc, 31, v12
	v_cndmask_b32_e32 v8, v0, v8, vcc
	v_cmp_gt_i32_e32 vcc, 31, v14
	v_lshl_or_b32 v6, v6, 9, v0
	v_cndmask_b32_e32 v13, v0, v13, vcc
	v_cmp_eq_u32_e32 vcc, s18, v12
	v_lshrrev_b32_e32 v9, 16, v9
	v_lshl_or_b32 v10, v10, 9, v0
	v_cndmask_b32_e32 v6, v8, v6, vcc
	v_cmp_eq_u32_e32 vcc, s18, v14
	v_lshrrev_b32_e32 v11, 16, v11
	v_cndmask_b32_e32 v8, v13, v10, vcc
	v_and_or_b32 v6, v9, s17, v6
	v_and_or_b32 v8, v11, s17, v8
	v_and_b32_e32 v6, 0xffff, v6
	v_lshl_or_b32 v6, v8, 16, v6
	global_store_dword v[4:5], v6, off
	global_load_dword v6, v24, s[6:7] offset:1120
	v_lshrrev_b32_e32 v8, 16, v7
	v_mov_b32_e32 v10, s12
	v_add_co_u32_e32 v4, vcc, s11, v4
	v_addc_co_u32_e32 v5, vcc, v5, v10, vcc
	s_waitcnt vmcnt(0)
	v_mul_f16_sdwa v9, v8, v6 dst_sel:DWORD dst_unused:UNUSED_PAD src0_sel:DWORD src1_sel:WORD_1
	v_fma_f16 v9, v7, v6, v9
	v_mul_f16_sdwa v7, v7, v6 dst_sel:DWORD dst_unused:UNUSED_PAD src0_sel:DWORD src1_sel:WORD_1
	v_cvt_f32_f16_e32 v9, v9
	v_fma_f16 v6, v6, v8, -v7
	v_cvt_f32_f16_e32 v8, v6
	v_cvt_f64_f32_e32 v[6:7], v9
	v_cvt_f64_f32_e32 v[8:9], v8
	v_mul_f64 v[6:7], v[6:7], s[14:15]
	v_mul_f64 v[8:9], v[8:9], s[14:15]
	v_and_or_b32 v6, v7, s16, v6
	v_cmp_ne_u32_e32 vcc, 0, v6
	v_and_or_b32 v8, v9, s16, v8
	v_lshrrev_b32_e32 v10, 8, v7
	v_bfe_u32 v11, v7, 20, 11
	v_cndmask_b32_e64 v6, 0, 1, vcc
	v_cmp_ne_u32_e32 vcc, 0, v8
	v_lshrrev_b32_e32 v12, 8, v9
	v_bfe_u32 v13, v9, 20, 11
	v_sub_u32_e32 v14, 0x3f1, v11
	v_cndmask_b32_e64 v8, 0, 1, vcc
	v_and_or_b32 v6, v10, s10, v6
	v_sub_u32_e32 v15, 0x3f1, v13
	v_med3_i32 v10, v14, 0, 13
	v_and_or_b32 v8, v12, s10, v8
	v_or_b32_e32 v14, 0x1000, v6
	v_add_u32_e32 v11, 0xfffffc10, v11
	v_med3_i32 v12, v15, 0, 13
	v_cmp_ne_u32_e32 vcc, 0, v6
	v_or_b32_e32 v16, 0x1000, v8
	v_lshrrev_b32_e32 v18, v10, v14
	v_add_u32_e32 v13, 0xfffffc10, v13
	v_lshl_or_b32 v15, v11, 12, v6
	v_cndmask_b32_e64 v6, 0, 1, vcc
	v_cmp_ne_u32_e32 vcc, 0, v8
	v_lshrrev_b32_e32 v19, v12, v16
	v_lshlrev_b32_e32 v10, v10, v18
	v_lshl_or_b32 v17, v13, 12, v8
	v_cndmask_b32_e64 v8, 0, 1, vcc
	v_lshlrev_b32_e32 v12, v12, v19
	v_cmp_ne_u32_e32 vcc, v10, v14
	v_cndmask_b32_e64 v10, 0, 1, vcc
	v_cmp_ne_u32_e32 vcc, v12, v16
	v_cndmask_b32_e64 v12, 0, 1, vcc
	v_or_b32_e32 v10, v18, v10
	v_cmp_gt_i32_e32 vcc, 1, v11
	v_cndmask_b32_e32 v10, v15, v10, vcc
	v_or_b32_e32 v12, v19, v12
	v_cmp_gt_i32_e32 vcc, 1, v13
	v_and_b32_e32 v14, 7, v10
	v_cndmask_b32_e32 v12, v17, v12, vcc
	v_cmp_lt_i32_e32 vcc, 5, v14
	v_cmp_eq_u32_e64 s[0:1], 3, v14
	v_lshrrev_b32_e32 v10, 2, v10
	v_and_b32_e32 v15, 7, v12
	s_or_b64 vcc, s[0:1], vcc
	v_cmp_lt_i32_e64 s[2:3], 5, v15
	v_cmp_eq_u32_e64 s[4:5], 3, v15
	v_addc_co_u32_e32 v10, vcc, 0, v10, vcc
	v_lshrrev_b32_e32 v12, 2, v12
	s_or_b64 vcc, s[4:5], s[2:3]
	v_addc_co_u32_e32 v12, vcc, 0, v12, vcc
	v_cmp_gt_i32_e32 vcc, 31, v11
	v_cndmask_b32_e32 v10, v0, v10, vcc
	v_cmp_gt_i32_e32 vcc, 31, v13
	v_lshl_or_b32 v6, v6, 9, v0
	v_cndmask_b32_e32 v12, v0, v12, vcc
	v_cmp_eq_u32_e32 vcc, s18, v11
	v_lshrrev_b32_e32 v7, 16, v7
	v_lshl_or_b32 v8, v8, 9, v0
	v_cndmask_b32_e32 v6, v10, v6, vcc
	v_cmp_eq_u32_e32 vcc, s18, v13
	v_lshrrev_b32_e32 v9, 16, v9
	v_cndmask_b32_e32 v8, v12, v8, vcc
	v_and_or_b32 v6, v7, s17, v6
	v_and_or_b32 v7, v9, s17, v8
	v_and_b32_e32 v6, 0xffff, v6
	v_lshl_or_b32 v6, v7, 16, v6
	global_store_dword v[4:5], v6, off
	global_load_dword v8, v24, s[6:7] offset:1232
	ds_read2_b32 v[6:7], v3 offset0:52 offset1:80
	v_add_co_u32_e32 v4, vcc, s11, v4
	s_waitcnt lgkmcnt(0)
	v_lshrrev_b32_e32 v9, 16, v6
	s_waitcnt vmcnt(0)
	v_mul_f16_sdwa v10, v9, v8 dst_sel:DWORD dst_unused:UNUSED_PAD src0_sel:DWORD src1_sel:WORD_1
	v_fma_f16 v10, v6, v8, v10
	v_mul_f16_sdwa v6, v6, v8 dst_sel:DWORD dst_unused:UNUSED_PAD src0_sel:DWORD src1_sel:WORD_1
	v_cvt_f32_f16_e32 v10, v10
	v_fma_f16 v6, v8, v9, -v6
	v_cvt_f32_f16_e32 v6, v6
	v_cvt_f64_f32_e32 v[8:9], v10
	v_cvt_f64_f32_e32 v[10:11], v6
	v_mov_b32_e32 v6, s12
	v_mul_f64 v[8:9], v[8:9], s[14:15]
	v_addc_co_u32_e32 v5, vcc, v5, v6, vcc
	v_mul_f64 v[10:11], v[10:11], s[14:15]
	v_and_or_b32 v6, v9, s16, v8
	v_cmp_ne_u32_e32 vcc, 0, v6
	v_lshrrev_b32_e32 v8, 8, v9
	v_and_or_b32 v10, v11, s16, v10
	v_bfe_u32 v12, v9, 20, 11
	v_cndmask_b32_e64 v6, 0, 1, vcc
	v_cmp_ne_u32_e32 vcc, 0, v10
	v_lshrrev_b32_e32 v13, 8, v11
	v_bfe_u32 v14, v11, 20, 11
	v_sub_u32_e32 v15, 0x3f1, v12
	v_cndmask_b32_e64 v10, 0, 1, vcc
	v_and_or_b32 v6, v8, s10, v6
	v_sub_u32_e32 v16, 0x3f1, v14
	v_med3_i32 v8, v15, 0, 13
	v_and_or_b32 v10, v13, s10, v10
	v_or_b32_e32 v15, 0x1000, v6
	v_add_u32_e32 v12, 0xfffffc10, v12
	v_med3_i32 v13, v16, 0, 13
	v_cmp_ne_u32_e32 vcc, 0, v6
	v_or_b32_e32 v17, 0x1000, v10
	v_lshrrev_b32_e32 v19, v8, v15
	v_add_u32_e32 v14, 0xfffffc10, v14
	v_lshl_or_b32 v16, v12, 12, v6
	v_cndmask_b32_e64 v6, 0, 1, vcc
	v_cmp_ne_u32_e32 vcc, 0, v10
	v_lshrrev_b32_e32 v20, v13, v17
	v_lshlrev_b32_e32 v8, v8, v19
	v_lshl_or_b32 v18, v14, 12, v10
	v_cndmask_b32_e64 v10, 0, 1, vcc
	v_lshlrev_b32_e32 v13, v13, v20
	v_cmp_ne_u32_e32 vcc, v8, v15
	v_cndmask_b32_e64 v8, 0, 1, vcc
	v_cmp_ne_u32_e32 vcc, v13, v17
	v_cndmask_b32_e64 v13, 0, 1, vcc
	v_or_b32_e32 v8, v19, v8
	v_cmp_gt_i32_e32 vcc, 1, v12
	v_cndmask_b32_e32 v8, v16, v8, vcc
	v_or_b32_e32 v13, v20, v13
	v_cmp_gt_i32_e32 vcc, 1, v14
	v_and_b32_e32 v15, 7, v8
	v_cndmask_b32_e32 v13, v18, v13, vcc
	v_cmp_lt_i32_e32 vcc, 5, v15
	v_cmp_eq_u32_e64 s[0:1], 3, v15
	v_lshrrev_b32_e32 v8, 2, v8
	v_and_b32_e32 v16, 7, v13
	s_or_b64 vcc, s[0:1], vcc
	v_cmp_lt_i32_e64 s[2:3], 5, v16
	v_cmp_eq_u32_e64 s[4:5], 3, v16
	v_addc_co_u32_e32 v8, vcc, 0, v8, vcc
	v_lshrrev_b32_e32 v13, 2, v13
	s_or_b64 vcc, s[4:5], s[2:3]
	v_addc_co_u32_e32 v13, vcc, 0, v13, vcc
	v_cmp_gt_i32_e32 vcc, 31, v12
	v_cndmask_b32_e32 v8, v0, v8, vcc
	v_cmp_gt_i32_e32 vcc, 31, v14
	v_lshl_or_b32 v6, v6, 9, v0
	v_cndmask_b32_e32 v13, v0, v13, vcc
	v_cmp_eq_u32_e32 vcc, s18, v12
	v_lshrrev_b32_e32 v9, 16, v9
	v_lshl_or_b32 v10, v10, 9, v0
	v_cndmask_b32_e32 v6, v8, v6, vcc
	v_cmp_eq_u32_e32 vcc, s18, v14
	v_lshrrev_b32_e32 v11, 16, v11
	v_cndmask_b32_e32 v8, v13, v10, vcc
	v_and_or_b32 v6, v9, s17, v6
	v_and_or_b32 v8, v11, s17, v8
	v_and_b32_e32 v6, 0xffff, v6
	v_lshl_or_b32 v6, v8, 16, v6
	global_store_dword v[4:5], v6, off
	global_load_dword v6, v24, s[6:7] offset:1344
	v_lshrrev_b32_e32 v8, 16, v7
	v_mov_b32_e32 v10, s12
	v_add_co_u32_e32 v4, vcc, s11, v4
	v_addc_co_u32_e32 v5, vcc, v5, v10, vcc
	s_waitcnt vmcnt(0)
	v_mul_f16_sdwa v9, v8, v6 dst_sel:DWORD dst_unused:UNUSED_PAD src0_sel:DWORD src1_sel:WORD_1
	v_fma_f16 v9, v7, v6, v9
	v_mul_f16_sdwa v7, v7, v6 dst_sel:DWORD dst_unused:UNUSED_PAD src0_sel:DWORD src1_sel:WORD_1
	v_cvt_f32_f16_e32 v9, v9
	v_fma_f16 v6, v6, v8, -v7
	v_cvt_f32_f16_e32 v8, v6
	v_cvt_f64_f32_e32 v[6:7], v9
	v_cvt_f64_f32_e32 v[8:9], v8
	v_mul_f64 v[6:7], v[6:7], s[14:15]
	v_mul_f64 v[8:9], v[8:9], s[14:15]
	v_and_or_b32 v6, v7, s16, v6
	v_cmp_ne_u32_e32 vcc, 0, v6
	v_and_or_b32 v8, v9, s16, v8
	v_lshrrev_b32_e32 v10, 8, v7
	v_bfe_u32 v11, v7, 20, 11
	v_cndmask_b32_e64 v6, 0, 1, vcc
	v_cmp_ne_u32_e32 vcc, 0, v8
	v_lshrrev_b32_e32 v12, 8, v9
	v_bfe_u32 v13, v9, 20, 11
	v_sub_u32_e32 v14, 0x3f1, v11
	v_cndmask_b32_e64 v8, 0, 1, vcc
	v_and_or_b32 v6, v10, s10, v6
	v_sub_u32_e32 v15, 0x3f1, v13
	v_med3_i32 v10, v14, 0, 13
	v_and_or_b32 v8, v12, s10, v8
	v_or_b32_e32 v14, 0x1000, v6
	v_add_u32_e32 v11, 0xfffffc10, v11
	v_med3_i32 v12, v15, 0, 13
	v_cmp_ne_u32_e32 vcc, 0, v6
	v_or_b32_e32 v16, 0x1000, v8
	v_lshrrev_b32_e32 v18, v10, v14
	v_add_u32_e32 v13, 0xfffffc10, v13
	v_lshl_or_b32 v15, v11, 12, v6
	v_cndmask_b32_e64 v6, 0, 1, vcc
	v_cmp_ne_u32_e32 vcc, 0, v8
	v_lshrrev_b32_e32 v19, v12, v16
	v_lshlrev_b32_e32 v10, v10, v18
	v_lshl_or_b32 v17, v13, 12, v8
	v_cndmask_b32_e64 v8, 0, 1, vcc
	v_lshlrev_b32_e32 v12, v12, v19
	v_cmp_ne_u32_e32 vcc, v10, v14
	v_cndmask_b32_e64 v10, 0, 1, vcc
	v_cmp_ne_u32_e32 vcc, v12, v16
	v_cndmask_b32_e64 v12, 0, 1, vcc
	v_or_b32_e32 v10, v18, v10
	v_cmp_gt_i32_e32 vcc, 1, v11
	v_cndmask_b32_e32 v10, v15, v10, vcc
	v_or_b32_e32 v12, v19, v12
	v_cmp_gt_i32_e32 vcc, 1, v13
	v_and_b32_e32 v14, 7, v10
	v_cndmask_b32_e32 v12, v17, v12, vcc
	v_cmp_lt_i32_e32 vcc, 5, v14
	v_cmp_eq_u32_e64 s[0:1], 3, v14
	v_lshrrev_b32_e32 v10, 2, v10
	v_and_b32_e32 v15, 7, v12
	s_or_b64 vcc, s[0:1], vcc
	v_cmp_lt_i32_e64 s[2:3], 5, v15
	v_cmp_eq_u32_e64 s[4:5], 3, v15
	v_addc_co_u32_e32 v10, vcc, 0, v10, vcc
	v_lshrrev_b32_e32 v12, 2, v12
	s_or_b64 vcc, s[4:5], s[2:3]
	v_addc_co_u32_e32 v12, vcc, 0, v12, vcc
	v_cmp_gt_i32_e32 vcc, 31, v11
	v_cndmask_b32_e32 v10, v0, v10, vcc
	v_cmp_gt_i32_e32 vcc, 31, v13
	v_lshl_or_b32 v6, v6, 9, v0
	v_cndmask_b32_e32 v12, v0, v12, vcc
	v_cmp_eq_u32_e32 vcc, s18, v11
	v_lshrrev_b32_e32 v7, 16, v7
	v_lshl_or_b32 v8, v8, 9, v0
	v_cndmask_b32_e32 v6, v10, v6, vcc
	v_cmp_eq_u32_e32 vcc, s18, v13
	v_lshrrev_b32_e32 v9, 16, v9
	v_cndmask_b32_e32 v8, v12, v8, vcc
	v_and_or_b32 v6, v7, s17, v6
	v_and_or_b32 v7, v9, s17, v8
	v_and_b32_e32 v6, 0xffff, v6
	v_lshl_or_b32 v6, v7, 16, v6
	global_store_dword v[4:5], v6, off
	global_load_dword v8, v24, s[6:7] offset:1456
	ds_read2_b32 v[6:7], v3 offset0:108 offset1:136
	v_add_co_u32_e32 v4, vcc, s11, v4
	s_waitcnt lgkmcnt(0)
	v_lshrrev_b32_e32 v9, 16, v6
	s_waitcnt vmcnt(0)
	v_mul_f16_sdwa v10, v9, v8 dst_sel:DWORD dst_unused:UNUSED_PAD src0_sel:DWORD src1_sel:WORD_1
	v_fma_f16 v10, v6, v8, v10
	v_mul_f16_sdwa v6, v6, v8 dst_sel:DWORD dst_unused:UNUSED_PAD src0_sel:DWORD src1_sel:WORD_1
	v_cvt_f32_f16_e32 v10, v10
	v_fma_f16 v6, v8, v9, -v6
	v_cvt_f32_f16_e32 v6, v6
	v_cvt_f64_f32_e32 v[8:9], v10
	v_cvt_f64_f32_e32 v[10:11], v6
	v_mov_b32_e32 v6, s12
	v_mul_f64 v[8:9], v[8:9], s[14:15]
	v_addc_co_u32_e32 v5, vcc, v5, v6, vcc
	v_mul_f64 v[10:11], v[10:11], s[14:15]
	v_and_or_b32 v6, v9, s16, v8
	v_cmp_ne_u32_e32 vcc, 0, v6
	v_lshrrev_b32_e32 v8, 8, v9
	v_and_or_b32 v10, v11, s16, v10
	v_bfe_u32 v12, v9, 20, 11
	v_cndmask_b32_e64 v6, 0, 1, vcc
	v_cmp_ne_u32_e32 vcc, 0, v10
	v_lshrrev_b32_e32 v13, 8, v11
	v_bfe_u32 v14, v11, 20, 11
	v_sub_u32_e32 v15, 0x3f1, v12
	v_cndmask_b32_e64 v10, 0, 1, vcc
	v_and_or_b32 v6, v8, s10, v6
	v_sub_u32_e32 v16, 0x3f1, v14
	v_med3_i32 v8, v15, 0, 13
	v_and_or_b32 v10, v13, s10, v10
	v_or_b32_e32 v15, 0x1000, v6
	v_add_u32_e32 v12, 0xfffffc10, v12
	v_med3_i32 v13, v16, 0, 13
	v_cmp_ne_u32_e32 vcc, 0, v6
	v_or_b32_e32 v17, 0x1000, v10
	v_lshrrev_b32_e32 v19, v8, v15
	v_add_u32_e32 v14, 0xfffffc10, v14
	v_lshl_or_b32 v16, v12, 12, v6
	v_cndmask_b32_e64 v6, 0, 1, vcc
	v_cmp_ne_u32_e32 vcc, 0, v10
	v_lshrrev_b32_e32 v20, v13, v17
	v_lshlrev_b32_e32 v8, v8, v19
	v_lshl_or_b32 v18, v14, 12, v10
	v_cndmask_b32_e64 v10, 0, 1, vcc
	v_lshlrev_b32_e32 v13, v13, v20
	v_cmp_ne_u32_e32 vcc, v8, v15
	v_cndmask_b32_e64 v8, 0, 1, vcc
	v_cmp_ne_u32_e32 vcc, v13, v17
	v_cndmask_b32_e64 v13, 0, 1, vcc
	v_or_b32_e32 v8, v19, v8
	v_cmp_gt_i32_e32 vcc, 1, v12
	v_cndmask_b32_e32 v8, v16, v8, vcc
	v_or_b32_e32 v13, v20, v13
	v_cmp_gt_i32_e32 vcc, 1, v14
	v_and_b32_e32 v15, 7, v8
	v_cndmask_b32_e32 v13, v18, v13, vcc
	v_cmp_lt_i32_e32 vcc, 5, v15
	v_cmp_eq_u32_e64 s[0:1], 3, v15
	v_lshrrev_b32_e32 v8, 2, v8
	v_and_b32_e32 v16, 7, v13
	s_or_b64 vcc, s[0:1], vcc
	v_cmp_lt_i32_e64 s[2:3], 5, v16
	v_cmp_eq_u32_e64 s[4:5], 3, v16
	v_addc_co_u32_e32 v8, vcc, 0, v8, vcc
	v_lshrrev_b32_e32 v13, 2, v13
	s_or_b64 vcc, s[4:5], s[2:3]
	v_addc_co_u32_e32 v13, vcc, 0, v13, vcc
	v_cmp_gt_i32_e32 vcc, 31, v12
	v_cndmask_b32_e32 v8, v0, v8, vcc
	v_cmp_gt_i32_e32 vcc, 31, v14
	v_lshl_or_b32 v6, v6, 9, v0
	v_cndmask_b32_e32 v13, v0, v13, vcc
	v_cmp_eq_u32_e32 vcc, s18, v12
	v_lshrrev_b32_e32 v9, 16, v9
	v_lshl_or_b32 v10, v10, 9, v0
	v_cndmask_b32_e32 v6, v8, v6, vcc
	v_cmp_eq_u32_e32 vcc, s18, v14
	v_lshrrev_b32_e32 v11, 16, v11
	v_cndmask_b32_e32 v8, v13, v10, vcc
	v_and_or_b32 v6, v9, s17, v6
	v_and_or_b32 v8, v11, s17, v8
	v_and_b32_e32 v6, 0xffff, v6
	v_lshl_or_b32 v6, v8, 16, v6
	global_store_dword v[4:5], v6, off
	global_load_dword v6, v24, s[6:7] offset:1568
	v_lshrrev_b32_e32 v8, 16, v7
	v_mov_b32_e32 v10, s12
	v_add_co_u32_e32 v4, vcc, s11, v4
	v_addc_co_u32_e32 v5, vcc, v5, v10, vcc
	s_waitcnt vmcnt(0)
	v_mul_f16_sdwa v9, v8, v6 dst_sel:DWORD dst_unused:UNUSED_PAD src0_sel:DWORD src1_sel:WORD_1
	v_fma_f16 v9, v7, v6, v9
	v_mul_f16_sdwa v7, v7, v6 dst_sel:DWORD dst_unused:UNUSED_PAD src0_sel:DWORD src1_sel:WORD_1
	v_cvt_f32_f16_e32 v9, v9
	v_fma_f16 v6, v6, v8, -v7
	v_cvt_f32_f16_e32 v8, v6
	v_cvt_f64_f32_e32 v[6:7], v9
	v_cvt_f64_f32_e32 v[8:9], v8
	v_mul_f64 v[6:7], v[6:7], s[14:15]
	v_mul_f64 v[8:9], v[8:9], s[14:15]
	v_and_or_b32 v6, v7, s16, v6
	v_cmp_ne_u32_e32 vcc, 0, v6
	v_and_or_b32 v8, v9, s16, v8
	v_lshrrev_b32_e32 v10, 8, v7
	v_bfe_u32 v11, v7, 20, 11
	v_cndmask_b32_e64 v6, 0, 1, vcc
	v_cmp_ne_u32_e32 vcc, 0, v8
	v_lshrrev_b32_e32 v12, 8, v9
	v_bfe_u32 v13, v9, 20, 11
	v_sub_u32_e32 v14, 0x3f1, v11
	v_cndmask_b32_e64 v8, 0, 1, vcc
	v_and_or_b32 v6, v10, s10, v6
	v_sub_u32_e32 v15, 0x3f1, v13
	v_med3_i32 v10, v14, 0, 13
	v_and_or_b32 v8, v12, s10, v8
	v_or_b32_e32 v14, 0x1000, v6
	v_add_u32_e32 v11, 0xfffffc10, v11
	v_med3_i32 v12, v15, 0, 13
	v_cmp_ne_u32_e32 vcc, 0, v6
	v_or_b32_e32 v16, 0x1000, v8
	v_lshrrev_b32_e32 v18, v10, v14
	v_add_u32_e32 v13, 0xfffffc10, v13
	v_lshl_or_b32 v15, v11, 12, v6
	v_cndmask_b32_e64 v6, 0, 1, vcc
	v_cmp_ne_u32_e32 vcc, 0, v8
	v_lshrrev_b32_e32 v19, v12, v16
	v_lshlrev_b32_e32 v10, v10, v18
	v_lshl_or_b32 v17, v13, 12, v8
	v_cndmask_b32_e64 v8, 0, 1, vcc
	v_lshlrev_b32_e32 v12, v12, v19
	v_cmp_ne_u32_e32 vcc, v10, v14
	v_cndmask_b32_e64 v10, 0, 1, vcc
	v_cmp_ne_u32_e32 vcc, v12, v16
	v_cndmask_b32_e64 v12, 0, 1, vcc
	v_or_b32_e32 v10, v18, v10
	v_cmp_gt_i32_e32 vcc, 1, v11
	v_cndmask_b32_e32 v10, v15, v10, vcc
	v_or_b32_e32 v12, v19, v12
	v_cmp_gt_i32_e32 vcc, 1, v13
	v_and_b32_e32 v14, 7, v10
	v_cndmask_b32_e32 v12, v17, v12, vcc
	v_cmp_lt_i32_e32 vcc, 5, v14
	v_cmp_eq_u32_e64 s[0:1], 3, v14
	v_lshrrev_b32_e32 v10, 2, v10
	v_and_b32_e32 v15, 7, v12
	s_or_b64 vcc, s[0:1], vcc
	v_cmp_lt_i32_e64 s[2:3], 5, v15
	v_cmp_eq_u32_e64 s[4:5], 3, v15
	v_addc_co_u32_e32 v10, vcc, 0, v10, vcc
	v_lshrrev_b32_e32 v12, 2, v12
	s_or_b64 vcc, s[4:5], s[2:3]
	v_addc_co_u32_e32 v12, vcc, 0, v12, vcc
	v_cmp_gt_i32_e32 vcc, 31, v11
	v_cndmask_b32_e32 v10, v0, v10, vcc
	v_cmp_gt_i32_e32 vcc, 31, v13
	v_lshl_or_b32 v6, v6, 9, v0
	v_cndmask_b32_e32 v12, v0, v12, vcc
	v_cmp_eq_u32_e32 vcc, s18, v11
	v_lshrrev_b32_e32 v7, 16, v7
	v_lshl_or_b32 v8, v8, 9, v0
	v_cndmask_b32_e32 v6, v10, v6, vcc
	v_cmp_eq_u32_e32 vcc, s18, v13
	v_lshrrev_b32_e32 v9, 16, v9
	v_cndmask_b32_e32 v8, v12, v8, vcc
	v_and_or_b32 v6, v7, s17, v6
	v_and_or_b32 v7, v9, s17, v8
	v_and_b32_e32 v6, 0xffff, v6
	v_lshl_or_b32 v6, v7, 16, v6
	global_store_dword v[4:5], v6, off
	global_load_dword v8, v24, s[6:7] offset:1680
	ds_read2_b32 v[6:7], v3 offset0:164 offset1:192
	s_waitcnt lgkmcnt(0)
	v_lshrrev_b32_e32 v3, 16, v6
	s_waitcnt vmcnt(0)
	v_mul_f16_sdwa v9, v3, v8 dst_sel:DWORD dst_unused:UNUSED_PAD src0_sel:DWORD src1_sel:WORD_1
	v_fma_f16 v9, v6, v8, v9
	v_mul_f16_sdwa v6, v6, v8 dst_sel:DWORD dst_unused:UNUSED_PAD src0_sel:DWORD src1_sel:WORD_1
	v_cvt_f32_f16_e32 v9, v9
	v_fma_f16 v3, v8, v3, -v6
	v_cvt_f32_f16_e32 v3, v3
	v_mov_b32_e32 v6, s12
	v_cvt_f64_f32_e32 v[8:9], v9
	v_cvt_f64_f32_e32 v[10:11], v3
	v_add_co_u32_e32 v3, vcc, s11, v4
	v_mul_f64 v[8:9], v[8:9], s[14:15]
	v_mul_f64 v[10:11], v[10:11], s[14:15]
	v_addc_co_u32_e32 v4, vcc, v5, v6, vcc
	v_and_or_b32 v5, v9, s16, v8
	v_and_or_b32 v10, v11, s16, v10
	v_cmp_ne_u32_e32 vcc, 0, v5
	v_lshrrev_b32_e32 v6, 8, v9
	v_bfe_u32 v8, v9, 20, 11
	v_cndmask_b32_e64 v5, 0, 1, vcc
	v_cmp_ne_u32_e32 vcc, 0, v10
	v_lshrrev_b32_e32 v12, 8, v11
	v_bfe_u32 v13, v11, 20, 11
	v_sub_u32_e32 v14, 0x3f1, v8
	v_cndmask_b32_e64 v10, 0, 1, vcc
	v_and_or_b32 v5, v6, s10, v5
	v_sub_u32_e32 v15, 0x3f1, v13
	v_med3_i32 v6, v14, 0, 13
	v_and_or_b32 v10, v12, s10, v10
	v_or_b32_e32 v14, 0x1000, v5
	v_add_u32_e32 v8, 0xfffffc10, v8
	v_med3_i32 v12, v15, 0, 13
	v_cmp_ne_u32_e32 vcc, 0, v5
	v_or_b32_e32 v16, 0x1000, v10
	v_lshrrev_b32_e32 v18, v6, v14
	v_add_u32_e32 v13, 0xfffffc10, v13
	v_lshl_or_b32 v15, v8, 12, v5
	v_cndmask_b32_e64 v5, 0, 1, vcc
	v_cmp_ne_u32_e32 vcc, 0, v10
	v_lshrrev_b32_e32 v19, v12, v16
	v_lshlrev_b32_e32 v6, v6, v18
	v_lshl_or_b32 v17, v13, 12, v10
	v_cndmask_b32_e64 v10, 0, 1, vcc
	v_lshlrev_b32_e32 v12, v12, v19
	v_cmp_ne_u32_e32 vcc, v6, v14
	v_cndmask_b32_e64 v6, 0, 1, vcc
	v_cmp_ne_u32_e32 vcc, v12, v16
	v_cndmask_b32_e64 v12, 0, 1, vcc
	v_or_b32_e32 v6, v18, v6
	v_cmp_gt_i32_e32 vcc, 1, v8
	v_cndmask_b32_e32 v6, v15, v6, vcc
	v_or_b32_e32 v12, v19, v12
	v_cmp_gt_i32_e32 vcc, 1, v13
	v_and_b32_e32 v14, 7, v6
	v_cndmask_b32_e32 v12, v17, v12, vcc
	v_cmp_lt_i32_e32 vcc, 5, v14
	v_cmp_eq_u32_e64 s[0:1], 3, v14
	v_lshrrev_b32_e32 v6, 2, v6
	v_and_b32_e32 v15, 7, v12
	s_or_b64 vcc, s[0:1], vcc
	v_cmp_lt_i32_e64 s[2:3], 5, v15
	v_cmp_eq_u32_e64 s[4:5], 3, v15
	v_addc_co_u32_e32 v6, vcc, 0, v6, vcc
	v_lshrrev_b32_e32 v12, 2, v12
	s_or_b64 vcc, s[4:5], s[2:3]
	v_addc_co_u32_e32 v12, vcc, 0, v12, vcc
	v_cmp_gt_i32_e32 vcc, 31, v8
	v_cndmask_b32_e32 v6, v0, v6, vcc
	v_cmp_gt_i32_e32 vcc, 31, v13
	v_lshl_or_b32 v5, v5, 9, v0
	v_cndmask_b32_e32 v12, v0, v12, vcc
	v_cmp_eq_u32_e32 vcc, s18, v8
	v_lshrrev_b32_e32 v9, 16, v9
	v_lshl_or_b32 v10, v10, 9, v0
	v_cndmask_b32_e32 v5, v6, v5, vcc
	v_cmp_eq_u32_e32 vcc, s18, v13
	v_lshrrev_b32_e32 v11, 16, v11
	v_cndmask_b32_e32 v6, v12, v10, vcc
	v_and_or_b32 v5, v9, s17, v5
	v_and_or_b32 v6, v11, s17, v6
	v_and_b32_e32 v5, 0xffff, v5
	v_lshl_or_b32 v5, v6, 16, v5
	global_store_dword v[3:4], v5, off
	global_load_dword v5, v24, s[6:7] offset:1792
	v_lshrrev_b32_e32 v6, 16, v7
	v_or_b32_e32 v9, 0x1c0, v23
	v_mad_u64_u32 v[3:4], s[0:1], s8, v9, 0
	s_waitcnt vmcnt(0)
	v_mul_f16_sdwa v8, v6, v5 dst_sel:DWORD dst_unused:UNUSED_PAD src0_sel:DWORD src1_sel:WORD_1
	v_fma_f16 v8, v7, v5, v8
	v_cvt_f32_f16_e32 v8, v8
	v_mul_f16_sdwa v7, v7, v5 dst_sel:DWORD dst_unused:UNUSED_PAD src0_sel:DWORD src1_sel:WORD_1
	v_fma_f16 v5, v5, v6, -v7
	v_cvt_f32_f16_e32 v7, v5
	v_cvt_f64_f32_e32 v[5:6], v8
	v_cvt_f64_f32_e32 v[7:8], v7
	v_mul_f64 v[5:6], v[5:6], s[14:15]
	v_mul_f64 v[7:8], v[7:8], s[14:15]
	v_mad_u64_u32 v[9:10], s[0:1], s9, v9, v[4:5]
	v_and_or_b32 v5, v6, s16, v5
	v_and_or_b32 v7, v8, s16, v7
	v_cmp_ne_u32_e32 vcc, 0, v5
	v_mov_b32_e32 v4, v9
	v_lshrrev_b32_e32 v9, 8, v6
	v_bfe_u32 v10, v6, 20, 11
	v_cndmask_b32_e64 v5, 0, 1, vcc
	v_cmp_ne_u32_e32 vcc, 0, v7
	v_lshrrev_b32_e32 v11, 8, v8
	v_bfe_u32 v12, v8, 20, 11
	v_sub_u32_e32 v13, 0x3f1, v10
	v_cndmask_b32_e64 v7, 0, 1, vcc
	v_and_or_b32 v5, v9, s10, v5
	v_sub_u32_e32 v14, 0x3f1, v12
	v_med3_i32 v9, v13, 0, 13
	v_and_or_b32 v7, v11, s10, v7
	v_or_b32_e32 v13, 0x1000, v5
	v_add_u32_e32 v10, 0xfffffc10, v10
	v_med3_i32 v11, v14, 0, 13
	v_cmp_ne_u32_e32 vcc, 0, v5
	v_or_b32_e32 v15, 0x1000, v7
	v_lshrrev_b32_e32 v17, v9, v13
	v_add_u32_e32 v12, 0xfffffc10, v12
	v_lshl_or_b32 v14, v10, 12, v5
	v_cndmask_b32_e64 v5, 0, 1, vcc
	v_cmp_ne_u32_e32 vcc, 0, v7
	v_lshrrev_b32_e32 v18, v11, v15
	v_lshlrev_b32_e32 v9, v9, v17
	v_lshl_or_b32 v16, v12, 12, v7
	v_cndmask_b32_e64 v7, 0, 1, vcc
	v_lshlrev_b32_e32 v11, v11, v18
	v_cmp_ne_u32_e32 vcc, v9, v13
	v_cndmask_b32_e64 v9, 0, 1, vcc
	v_cmp_ne_u32_e32 vcc, v11, v15
	v_cndmask_b32_e64 v11, 0, 1, vcc
	v_or_b32_e32 v9, v17, v9
	v_cmp_gt_i32_e32 vcc, 1, v10
	v_cndmask_b32_e32 v9, v14, v9, vcc
	v_or_b32_e32 v11, v18, v11
	v_cmp_gt_i32_e32 vcc, 1, v12
	v_and_b32_e32 v13, 7, v9
	v_cndmask_b32_e32 v11, v16, v11, vcc
	v_cmp_lt_i32_e32 vcc, 5, v13
	v_cmp_eq_u32_e64 s[0:1], 3, v13
	v_lshrrev_b32_e32 v9, 2, v9
	v_and_b32_e32 v14, 7, v11
	s_or_b64 vcc, s[0:1], vcc
	v_cmp_lt_i32_e64 s[2:3], 5, v14
	v_cmp_eq_u32_e64 s[4:5], 3, v14
	v_addc_co_u32_e32 v9, vcc, 0, v9, vcc
	v_lshrrev_b32_e32 v11, 2, v11
	s_or_b64 vcc, s[4:5], s[2:3]
	v_addc_co_u32_e32 v11, vcc, 0, v11, vcc
	v_cmp_gt_i32_e32 vcc, 31, v10
	v_cndmask_b32_e32 v9, v0, v9, vcc
	v_cmp_gt_i32_e32 vcc, 31, v12
	v_lshl_or_b32 v5, v5, 9, v0
	v_lshl_or_b32 v7, v7, 9, v0
	v_cndmask_b32_e32 v0, v0, v11, vcc
	v_cmp_eq_u32_e32 vcc, s18, v10
	v_lshrrev_b32_e32 v6, 16, v6
	v_cndmask_b32_e32 v5, v9, v5, vcc
	v_cmp_eq_u32_e32 vcc, s18, v12
	v_lshlrev_b64 v[3:4], 2, v[3:4]
	v_lshrrev_b32_e32 v8, 16, v8
	v_cndmask_b32_e32 v0, v0, v7, vcc
	v_and_or_b32 v5, v6, s17, v5
	v_and_or_b32 v0, v8, s17, v0
	v_and_b32_e32 v5, 0xffff, v5
	v_lshl_or_b32 v5, v0, 16, v5
	v_add_co_u32_e32 v0, vcc, v1, v3
	v_addc_co_u32_e32 v1, vcc, v2, v4, vcc
	global_store_dword v[0:1], v5, off
.LBB0_15:
	s_endpgm
	.section	.rodata,"a",@progbits
	.p2align	6, 0x0
	.amdhsa_kernel bluestein_single_back_len476_dim1_half_op_CI_CI
		.amdhsa_group_segment_fixed_size 5712
		.amdhsa_private_segment_fixed_size 0
		.amdhsa_kernarg_size 104
		.amdhsa_user_sgpr_count 6
		.amdhsa_user_sgpr_private_segment_buffer 1
		.amdhsa_user_sgpr_dispatch_ptr 0
		.amdhsa_user_sgpr_queue_ptr 0
		.amdhsa_user_sgpr_kernarg_segment_ptr 1
		.amdhsa_user_sgpr_dispatch_id 0
		.amdhsa_user_sgpr_flat_scratch_init 0
		.amdhsa_user_sgpr_private_segment_size 0
		.amdhsa_uses_dynamic_stack 0
		.amdhsa_system_sgpr_private_segment_wavefront_offset 0
		.amdhsa_system_sgpr_workgroup_id_x 1
		.amdhsa_system_sgpr_workgroup_id_y 0
		.amdhsa_system_sgpr_workgroup_id_z 0
		.amdhsa_system_sgpr_workgroup_info 0
		.amdhsa_system_vgpr_workitem_id 0
		.amdhsa_next_free_vgpr 198
		.amdhsa_next_free_sgpr 44
		.amdhsa_reserve_vcc 1
		.amdhsa_reserve_flat_scratch 0
		.amdhsa_float_round_mode_32 0
		.amdhsa_float_round_mode_16_64 0
		.amdhsa_float_denorm_mode_32 3
		.amdhsa_float_denorm_mode_16_64 3
		.amdhsa_dx10_clamp 1
		.amdhsa_ieee_mode 1
		.amdhsa_fp16_overflow 0
		.amdhsa_exception_fp_ieee_invalid_op 0
		.amdhsa_exception_fp_denorm_src 0
		.amdhsa_exception_fp_ieee_div_zero 0
		.amdhsa_exception_fp_ieee_overflow 0
		.amdhsa_exception_fp_ieee_underflow 0
		.amdhsa_exception_fp_ieee_inexact 0
		.amdhsa_exception_int_div_zero 0
	.end_amdhsa_kernel
	.text
.Lfunc_end0:
	.size	bluestein_single_back_len476_dim1_half_op_CI_CI, .Lfunc_end0-bluestein_single_back_len476_dim1_half_op_CI_CI
                                        ; -- End function
	.section	.AMDGPU.csdata,"",@progbits
; Kernel info:
; codeLenInByte = 28572
; NumSgprs: 48
; NumVgprs: 198
; ScratchSize: 0
; MemoryBound: 0
; FloatMode: 240
; IeeeMode: 1
; LDSByteSize: 5712 bytes/workgroup (compile time only)
; SGPRBlocks: 5
; VGPRBlocks: 49
; NumSGPRsForWavesPerEU: 48
; NumVGPRsForWavesPerEU: 198
; Occupancy: 1
; WaveLimiterHint : 1
; COMPUTE_PGM_RSRC2:SCRATCH_EN: 0
; COMPUTE_PGM_RSRC2:USER_SGPR: 6
; COMPUTE_PGM_RSRC2:TRAP_HANDLER: 0
; COMPUTE_PGM_RSRC2:TGID_X_EN: 1
; COMPUTE_PGM_RSRC2:TGID_Y_EN: 0
; COMPUTE_PGM_RSRC2:TGID_Z_EN: 0
; COMPUTE_PGM_RSRC2:TIDIG_COMP_CNT: 0
	.type	__hip_cuid_a95baf0cf9ad7106,@object ; @__hip_cuid_a95baf0cf9ad7106
	.section	.bss,"aw",@nobits
	.globl	__hip_cuid_a95baf0cf9ad7106
__hip_cuid_a95baf0cf9ad7106:
	.byte	0                               ; 0x0
	.size	__hip_cuid_a95baf0cf9ad7106, 1

	.ident	"AMD clang version 19.0.0git (https://github.com/RadeonOpenCompute/llvm-project roc-6.4.0 25133 c7fe45cf4b819c5991fe208aaa96edf142730f1d)"
	.section	".note.GNU-stack","",@progbits
	.addrsig
	.addrsig_sym __hip_cuid_a95baf0cf9ad7106
	.amdgpu_metadata
---
amdhsa.kernels:
  - .args:
      - .actual_access:  read_only
        .address_space:  global
        .offset:         0
        .size:           8
        .value_kind:     global_buffer
      - .actual_access:  read_only
        .address_space:  global
        .offset:         8
        .size:           8
        .value_kind:     global_buffer
      - .actual_access:  read_only
        .address_space:  global
        .offset:         16
        .size:           8
        .value_kind:     global_buffer
      - .actual_access:  read_only
        .address_space:  global
        .offset:         24
        .size:           8
        .value_kind:     global_buffer
      - .actual_access:  read_only
        .address_space:  global
        .offset:         32
        .size:           8
        .value_kind:     global_buffer
      - .offset:         40
        .size:           8
        .value_kind:     by_value
      - .address_space:  global
        .offset:         48
        .size:           8
        .value_kind:     global_buffer
      - .address_space:  global
        .offset:         56
        .size:           8
        .value_kind:     global_buffer
      - .address_space:  global
        .offset:         64
        .size:           8
        .value_kind:     global_buffer
      - .address_space:  global
        .offset:         72
        .size:           8
        .value_kind:     global_buffer
      - .offset:         80
        .size:           4
        .value_kind:     by_value
      - .address_space:  global
        .offset:         88
        .size:           8
        .value_kind:     global_buffer
      - .address_space:  global
        .offset:         96
        .size:           8
        .value_kind:     global_buffer
    .group_segment_fixed_size: 5712
    .kernarg_segment_align: 8
    .kernarg_segment_size: 104
    .language:       OpenCL C
    .language_version:
      - 2
      - 0
    .max_flat_workgroup_size: 102
    .name:           bluestein_single_back_len476_dim1_half_op_CI_CI
    .private_segment_fixed_size: 0
    .sgpr_count:     48
    .sgpr_spill_count: 0
    .symbol:         bluestein_single_back_len476_dim1_half_op_CI_CI.kd
    .uniform_work_group_size: 1
    .uses_dynamic_stack: false
    .vgpr_count:     198
    .vgpr_spill_count: 0
    .wavefront_size: 64
amdhsa.target:   amdgcn-amd-amdhsa--gfx906
amdhsa.version:
  - 1
  - 2
...

	.end_amdgpu_metadata
